;; amdgpu-corpus repo=ROCm/rocFFT kind=compiled arch=gfx1030 opt=O3
	.text
	.amdgcn_target "amdgcn-amd-amdhsa--gfx1030"
	.amdhsa_code_object_version 6
	.protected	bluestein_single_back_len2430_dim1_half_op_CI_CI ; -- Begin function bluestein_single_back_len2430_dim1_half_op_CI_CI
	.globl	bluestein_single_back_len2430_dim1_half_op_CI_CI
	.p2align	8
	.type	bluestein_single_back_len2430_dim1_half_op_CI_CI,@function
bluestein_single_back_len2430_dim1_half_op_CI_CI: ; @bluestein_single_back_len2430_dim1_half_op_CI_CI
; %bb.0:
	s_load_dwordx4 s[16:19], s[4:5], 0x28
	v_mul_u32_u24_e32 v1, 0x32a, v0
	v_mov_b32_e32 v2, 0
	s_mov_b32 s0, exec_lo
	v_lshrrev_b32_e32 v3, 16, v1
	v_add_nc_u32_e32 v1, s6, v3
	s_waitcnt lgkmcnt(0)
	v_cmpx_gt_u64_e64 s[16:17], v[1:2]
	s_cbranch_execz .LBB0_2
; %bb.1:
	s_clause 0x1
	s_load_dwordx4 s[8:11], s[4:5], 0x18
	s_load_dwordx4 s[0:3], s[4:5], 0x0
	v_mul_lo_u16 v2, 0x51, v3
	v_mov_b32_e32 v55, 2
	v_mov_b32_e32 v110, 0x5a
	v_sub_nc_u16 v54, v0, v2
	v_and_b32_e32 v145, 0xffff, v54
	v_lshlrev_b32_e32 v148, 2, v145
	s_waitcnt lgkmcnt(0)
	s_load_dwordx4 s[12:15], s[8:9], 0x0
	v_add_co_u32 v104, s6, s0, v148
	v_add_co_ci_u32_e64 v105, null, s1, 0, s6
	v_add_nc_u32_e32 v143, 0x400, v148
	v_add_co_u32 v27, vcc_lo, 0x800, v104
	v_add_co_ci_u32_e32 v28, vcc_lo, 0, v105, vcc_lo
	v_add_nc_u32_e32 v156, 0x800, v148
	v_add_nc_u32_e32 v140, 0xc00, v148
	;; [unrolled: 1-line block ×9, first 2 shown]
	s_waitcnt lgkmcnt(0)
	v_mad_u64_u32 v[2:3], null, s14, v1, 0
	v_mad_u64_u32 v[4:5], null, s12, v145, 0
	s_mul_i32 s7, s13, 0x3cc
	s_mul_hi_u32 s8, s12, 0x3cc
	s_mul_i32 s6, s12, 0x3cc
	s_add_i32 s7, s8, s7
	v_mov_b32_e32 v0, v3
	s_mul_i32 s8, s13, 0xffffdf18
	v_mov_b32_e32 v3, v5
	s_sub_i32 s8, s8, s12
	v_add_nc_u32_e32 v155, 0xe00, v148
	v_mad_u64_u32 v[5:6], null, s15, v1, v[0:1]
	v_mad_u64_u32 v[6:7], null, s13, v145, v[3:4]
	s_clause 0x4
	global_load_dword v0, v148, s[0:1] offset:1944
	global_load_dword v151, v148, s[0:1]
	global_load_dword v135, v148, s[0:1] offset:324
	global_load_dword v150, v148, s[0:1] offset:972
	;; [unrolled: 1-line block ×3, first 2 shown]
	v_add_nc_u32_e32 v153, 0x1600, v148
	v_add_nc_u32_e32 v147, 0x2000, v148
	v_mov_b32_e32 v3, v5
	v_add_nc_u32_e32 v149, 0x1c00, v148
	v_mov_b32_e32 v5, v6
	v_lshlrev_b64 v[2:3], 2, v[2:3]
	v_lshlrev_b64 v[4:5], 2, v[4:5]
	v_add_co_u32 v2, vcc_lo, s18, v2
	v_add_co_ci_u32_e32 v3, vcc_lo, s19, v3, vcc_lo
	v_add_co_u32 v2, vcc_lo, v2, v4
	v_add_co_ci_u32_e32 v3, vcc_lo, v3, v5, vcc_lo
	;; [unrolled: 2-line block ×3, first 2 shown]
	global_load_dword v12, v[2:3], off
	v_add_co_u32 v2, vcc_lo, v4, s6
	v_add_co_ci_u32_e32 v3, vcc_lo, s7, v5, vcc_lo
	v_add_co_u32 v29, vcc_lo, 0x1000, v104
	v_add_co_ci_u32_e32 v30, vcc_lo, 0, v105, vcc_lo
	s_clause 0x1
	global_load_dword v11, v[4:5], off
	global_load_dword v10, v[2:3], off
	v_add_co_u32 v2, vcc_lo, v2, s6
	v_add_co_ci_u32_e32 v3, vcc_lo, s7, v3, vcc_lo
	v_add_co_u32 v31, vcc_lo, 0x1800, v104
	v_add_co_ci_u32_e32 v32, vcc_lo, 0, v105, vcc_lo
	global_load_dword v8, v[2:3], off
	v_add_co_u32 v2, vcc_lo, v2, s6
	v_add_co_ci_u32_e32 v3, vcc_lo, s7, v3, vcc_lo
	global_load_dword v146, v[27:28], off offset:868
	v_add_co_u32 v4, vcc_lo, v2, s6
	v_add_co_ci_u32_e32 v5, vcc_lo, s7, v3, vcc_lo
	global_load_dword v144, v[27:28], off offset:1840
	global_load_dword v9, v[2:3], off
	s_clause 0x1
	global_load_dword v142, v[29:30], off offset:764
	global_load_dword v141, v[29:30], off offset:1736
	global_load_dword v7, v[4:5], off
	v_add_co_u32 v2, vcc_lo, v4, s6
	v_add_co_ci_u32_e32 v3, vcc_lo, s7, v5, vcc_lo
	global_load_dword v139, v[31:32], off offset:660
	v_add_co_u32 v4, vcc_lo, v2, s6
	v_add_co_ci_u32_e32 v5, vcc_lo, s7, v3, vcc_lo
	global_load_dword v6, v[2:3], off
	v_add_co_u32 v13, vcc_lo, v4, s6
	v_add_co_ci_u32_e32 v14, vcc_lo, s7, v5, vcc_lo
	global_load_dword v4, v[4:5], off
	v_add_co_u32 v15, vcc_lo, v13, s6
	v_add_co_ci_u32_e32 v16, vcc_lo, s7, v14, vcc_lo
	v_add_co_u32 v2, vcc_lo, 0x2000, v104
	v_add_co_ci_u32_e32 v3, vcc_lo, 0, v105, vcc_lo
	v_mad_u64_u32 v[17:18], null, 0xffffdf18, s12, v[15:16]
	global_load_dword v5, v[13:14], off
	s_clause 0x2
	global_load_dword v138, v[31:32], off offset:1632
	global_load_dword v136, v[2:3], off offset:556
	;; [unrolled: 1-line block ×3, first 2 shown]
	global_load_dword v13, v[15:16], off
	s_clause 0x3
	global_load_dword v130, v[27:28], off offset:1192
	global_load_dword v129, v[29:30], off offset:116
	;; [unrolled: 1-line block ×4, first 2 shown]
	v_add_nc_u32_e32 v18, s8, v18
	v_add_co_u32 v14, vcc_lo, v17, s6
	v_add_co_ci_u32_e32 v15, vcc_lo, s7, v18, vcc_lo
	global_load_dword v17, v[17:18], off
	v_add_co_u32 v18, vcc_lo, v14, s6
	v_add_co_ci_u32_e32 v19, vcc_lo, s7, v15, vcc_lo
	global_load_dword v16, v[14:15], off
	;; [unrolled: 3-line block ×7, first 2 shown]
	v_add_co_u32 v33, vcc_lo, v24, s6
	v_add_co_ci_u32_e32 v34, vcc_lo, s7, v25, vcc_lo
	global_load_dword v126, v[31:32], off offset:984
	global_load_dword v21, v[24:25], off
	v_add_co_u32 v35, vcc_lo, v33, s6
	v_add_co_ci_u32_e32 v36, vcc_lo, s7, v34, vcc_lo
	global_load_dword v22, v[33:34], off
	global_load_dword v125, v[31:32], off offset:1956
	v_mad_u64_u32 v[25:26], null, 0xffffdf18, s12, v[35:36]
	v_add_nc_u32_e32 v26, s8, v26
	global_load_dword v23, v[35:36], off
	s_clause 0x1
	global_load_dword v122, v148, s[0:1] offset:1620
	global_load_dword v124, v[2:3], off offset:880
	global_load_dword v24, v[25:26], off
	v_add_co_u32 v25, vcc_lo, v25, s6
	v_add_co_ci_u32_e32 v26, vcc_lo, s7, v26, vcc_lo
	global_load_dword v123, v148, s[0:1] offset:648
	v_add_co_u32 v33, vcc_lo, v25, s6
	v_add_co_ci_u32_e32 v34, vcc_lo, s7, v26, vcc_lo
	global_load_dword v25, v[25:26], off
	v_add_co_u32 v35, vcc_lo, v33, s6
	v_add_co_ci_u32_e32 v36, vcc_lo, s7, v34, vcc_lo
	global_load_dword v120, v[27:28], off offset:1516
	global_load_dword v26, v[33:34], off
	global_load_dword v121, v[27:28], off offset:544
	global_load_dword v27, v[35:36], off
	v_add_co_u32 v33, vcc_lo, v35, s6
	v_add_co_ci_u32_e32 v34, vcc_lo, s7, v36, vcc_lo
	v_add_co_u32 v35, vcc_lo, v33, s6
	v_add_co_ci_u32_e32 v36, vcc_lo, s7, v34, vcc_lo
	global_load_dword v118, v[29:30], off offset:1412
	global_load_dword v28, v[33:34], off
	s_clause 0x1
	global_load_dword v119, v[29:30], off offset:440
	global_load_dword v116, v[31:32], off offset:1308
	global_load_dword v29, v[35:36], off
	v_add_co_u32 v33, vcc_lo, v35, s6
	v_add_co_ci_u32_e32 v34, vcc_lo, s7, v36, vcc_lo
	global_load_dword v117, v[31:32], off offset:336
	v_add_co_u32 v31, vcc_lo, v33, s6
	v_add_co_ci_u32_e32 v32, vcc_lo, s7, v34, vcc_lo
	global_load_dword v30, v[33:34], off
	v_add_co_u32 v33, vcc_lo, v31, s6
	v_add_co_ci_u32_e32 v34, vcc_lo, s7, v32, vcc_lo
	global_load_dword v31, v[31:32], off
	;; [unrolled: 3-line block ×3, first 2 shown]
	global_load_dword v33, v[35:36], off
	s_clause 0x1
	global_load_dword v114, v[2:3], off offset:1204
	global_load_dword v115, v[2:3], off offset:232
	s_load_dwordx4 s[8:11], s[10:11], 0x0
	v_mul_lo_u16 v34, v54, 10
	v_cmp_gt_u16_e32 vcc_lo, 9, v54
	v_lshlrev_b32_sdwa v159, v55, v34 dst_sel:DWORD dst_unused:UNUSED_PAD src0_sel:DWORD src1_sel:WORD_0
	s_waitcnt vmcnt(54)
	v_lshrrev_b32_e32 v35, 16, v12
	v_mul_f16_sdwa v36, v151, v12 dst_sel:DWORD dst_unused:UNUSED_PAD src0_sel:WORD_1 src1_sel:DWORD
	v_mul_f16_sdwa v37, v151, v35 dst_sel:DWORD dst_unused:UNUSED_PAD src0_sel:WORD_1 src1_sel:DWORD
	v_fma_f16 v35, v151, v35, -v36
	s_waitcnt vmcnt(53)
	v_lshrrev_b32_e32 v38, 16, v11
	v_mul_f16_sdwa v39, v150, v11 dst_sel:DWORD dst_unused:UNUSED_PAD src0_sel:WORD_1 src1_sel:DWORD
	v_fmac_f16_e32 v37, v151, v12
	s_waitcnt vmcnt(52)
	v_lshrrev_b32_e32 v36, 16, v10
	v_mul_f16_sdwa v12, v150, v38 dst_sel:DWORD dst_unused:UNUSED_PAD src0_sel:WORD_1 src1_sel:DWORD
	v_fma_f16 v38, v150, v38, -v39
	v_mul_f16_sdwa v39, v0, v10 dst_sel:DWORD dst_unused:UNUSED_PAD src0_sel:WORD_1 src1_sel:DWORD
	v_pack_b32_f16 v35, v37, v35
	v_fmac_f16_e32 v12, v150, v11
	v_mul_f16_sdwa v11, v0, v36 dst_sel:DWORD dst_unused:UNUSED_PAD src0_sel:WORD_1 src1_sel:DWORD
	s_waitcnt vmcnt(51)
	v_lshrrev_b32_e32 v37, 16, v8
	v_fma_f16 v36, v0, v36, -v39
	v_pack_b32_f16 v12, v12, v38
	v_fmac_f16_e32 v11, v0, v10
	s_waitcnt vmcnt(50)
	v_mul_f16_sdwa v10, v146, v37 dst_sel:DWORD dst_unused:UNUSED_PAD src0_sel:WORD_1 src1_sel:DWORD
	s_waitcnt vmcnt(48)
	v_lshrrev_b32_e32 v38, 16, v9
	v_mul_f16_sdwa v39, v144, v9 dst_sel:DWORD dst_unused:UNUSED_PAD src0_sel:WORD_1 src1_sel:DWORD
	v_mul_f16_sdwa v40, v146, v8 dst_sel:DWORD dst_unused:UNUSED_PAD src0_sel:WORD_1 src1_sel:DWORD
	ds_write_b32 v148, v12 offset:972
	v_pack_b32_f16 v11, v11, v36
	v_fmac_f16_e32 v10, v146, v8
	v_mul_f16_sdwa v8, v144, v38 dst_sel:DWORD dst_unused:UNUSED_PAD src0_sel:WORD_1 src1_sel:DWORD
	v_fma_f16 v12, v144, v38, -v39
	s_waitcnt vmcnt(45)
	v_lshrrev_b32_e32 v36, 16, v7
	v_mul_f16_sdwa v38, v142, v7 dst_sel:DWORD dst_unused:UNUSED_PAD src0_sel:WORD_1 src1_sel:DWORD
	v_fma_f16 v37, v146, v37, -v40
	ds_write_b32 v148, v11 offset:1944
	v_fmac_f16_e32 v8, v144, v9
	v_mul_f16_sdwa v9, v142, v36 dst_sel:DWORD dst_unused:UNUSED_PAD src0_sel:WORD_1 src1_sel:DWORD
	v_fma_f16 v11, v142, v36, -v38
	s_waitcnt vmcnt(43)
	v_lshrrev_b32_e32 v36, 16, v6
	v_pack_b32_f16 v10, v10, v37
	v_mul_f16_sdwa v37, v141, v6 dst_sel:DWORD dst_unused:UNUSED_PAD src0_sel:WORD_1 src1_sel:DWORD
	v_pack_b32_f16 v8, v8, v12
	v_fmac_f16_e32 v9, v142, v7
	v_mul_f16_sdwa v7, v141, v36 dst_sel:DWORD dst_unused:UNUSED_PAD src0_sel:WORD_1 src1_sel:DWORD
	ds_write_b32 v148, v10 offset:2916
	v_fma_f16 v10, v141, v36, -v37
	s_waitcnt vmcnt(42)
	v_lshrrev_b32_e32 v12, 16, v4
	v_mul_f16_sdwa v36, v139, v4 dst_sel:DWORD dst_unused:UNUSED_PAD src0_sel:WORD_1 src1_sel:DWORD
	ds_write_b32 v148, v8 offset:3888
	v_pack_b32_f16 v8, v9, v11
	v_fmac_f16_e32 v7, v141, v6
	s_waitcnt vmcnt(41)
	v_lshrrev_b32_e32 v9, 16, v5
	v_mul_f16_sdwa v6, v139, v12 dst_sel:DWORD dst_unused:UNUSED_PAD src0_sel:WORD_1 src1_sel:DWORD
	v_fma_f16 v11, v139, v12, -v36
	s_waitcnt vmcnt(40)
	v_mul_f16_sdwa v12, v138, v5 dst_sel:DWORD dst_unused:UNUSED_PAD src0_sel:WORD_1 src1_sel:DWORD
	ds_write_b32 v148, v8 offset:4860
	v_pack_b32_f16 v7, v7, v10
	v_mul_f16_sdwa v8, v138, v9 dst_sel:DWORD dst_unused:UNUSED_PAD src0_sel:WORD_1 src1_sel:DWORD
	s_waitcnt vmcnt(37)
	v_lshrrev_b32_e32 v10, 16, v13
	v_fmac_f16_e32 v6, v139, v4
	v_fma_f16 v4, v138, v9, -v12
	v_mul_f16_sdwa v9, v136, v13 dst_sel:DWORD dst_unused:UNUSED_PAD src0_sel:WORD_1 src1_sel:DWORD
	v_fmac_f16_e32 v8, v138, v5
	v_mul_f16_sdwa v5, v136, v10 dst_sel:DWORD dst_unused:UNUSED_PAD src0_sel:WORD_1 src1_sel:DWORD
	ds_write_b32 v148, v7 offset:5832
	v_pack_b32_f16 v6, v6, v11
	v_fma_f16 v7, v136, v10, -v9
	v_pack_b32_f16 v4, v8, v4
	v_fmac_f16_e32 v5, v136, v13
	s_waitcnt vmcnt(32)
	v_lshrrev_b32_e32 v8, 16, v17
	ds_write_b32 v148, v6 offset:6804
	v_mul_f16_sdwa v6, v135, v17 dst_sel:DWORD dst_unused:UNUSED_PAD src0_sel:WORD_1 src1_sel:DWORD
	ds_write_b32 v148, v4 offset:7776
	v_pack_b32_f16 v4, v5, v7
	v_mul_f16_sdwa v5, v135, v8 dst_sel:DWORD dst_unused:UNUSED_PAD src0_sel:WORD_1 src1_sel:DWORD
	s_waitcnt vmcnt(31)
	v_lshrrev_b32_e32 v7, 16, v16
	v_fma_f16 v6, v135, v8, -v6
	v_mul_f16_sdwa v8, v133, v16 dst_sel:DWORD dst_unused:UNUSED_PAD src0_sel:WORD_1 src1_sel:DWORD
	ds_write_b32 v148, v4 offset:8748
	v_fmac_f16_e32 v5, v135, v17
	v_mul_f16_sdwa v4, v133, v7 dst_sel:DWORD dst_unused:UNUSED_PAD src0_sel:WORD_1 src1_sel:DWORD
	s_waitcnt vmcnt(30)
	v_lshrrev_b32_e32 v9, 16, v15
	v_mul_f16_sdwa v10, v132, v15 dst_sel:DWORD dst_unused:UNUSED_PAD src0_sel:WORD_1 src1_sel:DWORD
	v_fma_f16 v7, v133, v7, -v8
	v_pack_b32_f16 v5, v5, v6
	v_fmac_f16_e32 v4, v133, v16
	v_mul_f16_sdwa v6, v132, v9 dst_sel:DWORD dst_unused:UNUSED_PAD src0_sel:WORD_1 src1_sel:DWORD
	v_fma_f16 v8, v132, v9, -v10
	s_waitcnt vmcnt(29)
	v_lshrrev_b32_e32 v9, 16, v14
	v_mul_f16_sdwa v10, v130, v14 dst_sel:DWORD dst_unused:UNUSED_PAD src0_sel:WORD_1 src1_sel:DWORD
	ds_write2_b32 v148, v35, v5 offset1:81
	v_pack_b32_f16 v4, v4, v7
	v_fmac_f16_e32 v6, v132, v15
	v_mul_f16_sdwa v5, v130, v9 dst_sel:DWORD dst_unused:UNUSED_PAD src0_sel:WORD_1 src1_sel:DWORD
	s_waitcnt vmcnt(28)
	v_lshrrev_b32_e32 v7, 16, v19
	v_fma_f16 v9, v130, v9, -v10
	v_mul_f16_sdwa v10, v129, v19 dst_sel:DWORD dst_unused:UNUSED_PAD src0_sel:WORD_1 src1_sel:DWORD
	v_pack_b32_f16 v6, v6, v8
	v_fmac_f16_e32 v5, v130, v14
	v_mul_f16_sdwa v8, v129, v7 dst_sel:DWORD dst_unused:UNUSED_PAD src0_sel:WORD_1 src1_sel:DWORD
	s_waitcnt vmcnt(27)
	v_lshrrev_b32_e32 v11, 16, v18
	v_fma_f16 v7, v129, v7, -v10
	v_mul_f16_sdwa v10, v128, v18 dst_sel:DWORD dst_unused:UNUSED_PAD src0_sel:WORD_1 src1_sel:DWORD
	;; [unrolled: 7-line block ×3, first 2 shown]
	v_pack_b32_f16 v7, v8, v7
	v_fmac_f16_e32 v9, v128, v18
	v_mul_f16_sdwa v8, v127, v12 dst_sel:DWORD dst_unused:UNUSED_PAD src0_sel:WORD_1 src1_sel:DWORD
	s_waitcnt vmcnt(24)
	v_lshrrev_b32_e32 v13, 16, v21
	v_mul_f16_sdwa v14, v126, v21 dst_sel:DWORD dst_unused:UNUSED_PAD src0_sel:WORD_1 src1_sel:DWORD
	v_fma_f16 v11, v127, v12, -v11
	v_pack_b32_f16 v9, v9, v10
	v_fmac_f16_e32 v8, v127, v20
	v_mul_f16_sdwa v10, v126, v13 dst_sel:DWORD dst_unused:UNUSED_PAD src0_sel:WORD_1 src1_sel:DWORD
	v_fma_f16 v12, v126, v13, -v14
	s_waitcnt vmcnt(23)
	v_lshrrev_b32_e32 v13, 16, v22
	s_waitcnt vmcnt(22)
	v_mul_f16_sdwa v14, v125, v22 dst_sel:DWORD dst_unused:UNUSED_PAD src0_sel:WORD_1 src1_sel:DWORD
	v_pack_b32_f16 v8, v8, v11
	s_waitcnt vmcnt(21)
	v_lshrrev_b32_e32 v11, 16, v23
	v_fmac_f16_e32 v10, v126, v21
	v_mul_f16_sdwa v15, v125, v13 dst_sel:DWORD dst_unused:UNUSED_PAD src0_sel:WORD_1 src1_sel:DWORD
	v_fma_f16 v13, v125, v13, -v14
	s_waitcnt vmcnt(19)
	v_mul_f16_sdwa v14, v124, v23 dst_sel:DWORD dst_unused:UNUSED_PAD src0_sel:WORD_1 src1_sel:DWORD
	v_mul_f16_sdwa v16, v124, v11 dst_sel:DWORD dst_unused:UNUSED_PAD src0_sel:WORD_1 src1_sel:DWORD
	v_pack_b32_f16 v10, v10, v12
	v_fmac_f16_e32 v15, v125, v22
	s_waitcnt vmcnt(18)
	v_lshrrev_b32_e32 v12, 16, v24
	v_fma_f16 v11, v124, v11, -v14
	v_fmac_f16_e32 v16, v124, v23
	s_waitcnt vmcnt(17)
	v_mul_f16_sdwa v14, v123, v24 dst_sel:DWORD dst_unused:UNUSED_PAD src0_sel:WORD_1 src1_sel:DWORD
	v_pack_b32_f16 v13, v15, v13
	v_mul_f16_sdwa v15, v123, v12 dst_sel:DWORD dst_unused:UNUSED_PAD src0_sel:WORD_1 src1_sel:DWORD
	s_waitcnt vmcnt(16)
	v_lshrrev_b32_e32 v17, 16, v25
	v_pack_b32_f16 v11, v16, v11
	v_fma_f16 v12, v123, v12, -v14
	v_mul_f16_sdwa v14, v122, v25 dst_sel:DWORD dst_unused:UNUSED_PAD src0_sel:WORD_1 src1_sel:DWORD
	v_fmac_f16_e32 v15, v123, v24
	v_mul_f16_sdwa v16, v122, v17 dst_sel:DWORD dst_unused:UNUSED_PAD src0_sel:WORD_1 src1_sel:DWORD
	s_waitcnt vmcnt(14)
	v_lshrrev_b32_e32 v18, 16, v26
	s_waitcnt vmcnt(13)
	v_mul_f16_sdwa v19, v121, v26 dst_sel:DWORD dst_unused:UNUSED_PAD src0_sel:WORD_1 src1_sel:DWORD
	v_fma_f16 v14, v122, v17, -v14
	v_pack_b32_f16 v12, v15, v12
	v_fmac_f16_e32 v16, v122, v25
	v_mul_f16_sdwa v15, v121, v18 dst_sel:DWORD dst_unused:UNUSED_PAD src0_sel:WORD_1 src1_sel:DWORD
	v_fma_f16 v17, v121, v18, -v19
	s_waitcnt vmcnt(12)
	v_lshrrev_b32_e32 v18, 16, v27
	v_mul_f16_sdwa v19, v120, v27 dst_sel:DWORD dst_unused:UNUSED_PAD src0_sel:WORD_1 src1_sel:DWORD
	ds_write_b32 v148, v12 offset:648
	v_pack_b32_f16 v12, v16, v14
	v_fmac_f16_e32 v15, v121, v26
	v_mul_f16_sdwa v14, v120, v18 dst_sel:DWORD dst_unused:UNUSED_PAD src0_sel:WORD_1 src1_sel:DWORD
	v_fma_f16 v16, v120, v18, -v19
	s_waitcnt vmcnt(10)
	v_lshrrev_b32_e32 v18, 16, v28
	s_waitcnt vmcnt(9)
	v_mul_f16_sdwa v19, v119, v28 dst_sel:DWORD dst_unused:UNUSED_PAD src0_sel:WORD_1 src1_sel:DWORD
	ds_write2_b32 v143, v4, v12 offset0:68 offset1:149
	v_pack_b32_f16 v4, v15, v17
	v_fmac_f16_e32 v14, v120, v27
	v_mul_f16_sdwa v12, v119, v18 dst_sel:DWORD dst_unused:UNUSED_PAD src0_sel:WORD_1 src1_sel:DWORD
	v_fma_f16 v15, v119, v18, -v19
	s_waitcnt vmcnt(7)
	v_lshrrev_b32_e32 v17, 16, v29
	v_mul_f16_sdwa v18, v118, v29 dst_sel:DWORD dst_unused:UNUSED_PAD src0_sel:WORD_1 src1_sel:DWORD
	ds_write2_b32 v156, v6, v4 offset0:55 offset1:136
	v_pack_b32_f16 v4, v14, v16
	v_fmac_f16_e32 v12, v119, v28
	v_mul_f16_sdwa v6, v118, v17 dst_sel:DWORD dst_unused:UNUSED_PAD src0_sel:WORD_1 src1_sel:DWORD
	v_fma_f16 v14, v118, v17, -v18
	s_waitcnt vmcnt(5)
	v_lshrrev_b32_e32 v16, 16, v30
	v_mul_f16_sdwa v17, v117, v30 dst_sel:DWORD dst_unused:UNUSED_PAD src0_sel:WORD_1 src1_sel:DWORD
	ds_write2_b32 v140, v5, v4 offset0:42 offset1:123
	v_pack_b32_f16 v4, v12, v15
	s_waitcnt vmcnt(4)
	v_lshrrev_b32_e32 v15, 16, v31
	v_mul_f16_sdwa v5, v117, v16 dst_sel:DWORD dst_unused:UNUSED_PAD src0_sel:WORD_1 src1_sel:DWORD
	v_fma_f16 v12, v117, v16, -v17
	v_mul_f16_sdwa v16, v116, v31 dst_sel:DWORD dst_unused:UNUSED_PAD src0_sel:WORD_1 src1_sel:DWORD
	ds_write2_b32 v154, v7, v4 offset0:29 offset1:110
	s_waitcnt vmcnt(3)
	v_lshrrev_b32_e32 v4, 16, v32
	s_waitcnt vmcnt(2)
	v_lshrrev_b32_e32 v17, 16, v33
	v_mul_f16_sdwa v7, v116, v15 dst_sel:DWORD dst_unused:UNUSED_PAD src0_sel:WORD_1 src1_sel:DWORD
	v_fma_f16 v15, v116, v15, -v16
	s_waitcnt vmcnt(0)
	v_mul_f16_sdwa v16, v115, v32 dst_sel:DWORD dst_unused:UNUSED_PAD src0_sel:WORD_1 src1_sel:DWORD
	v_mul_f16_sdwa v18, v115, v4 dst_sel:DWORD dst_unused:UNUSED_PAD src0_sel:WORD_1 src1_sel:DWORD
	;; [unrolled: 1-line block ×4, first 2 shown]
	v_fmac_f16_e32 v6, v118, v29
	v_fmac_f16_e32 v5, v117, v30
	;; [unrolled: 1-line block ×3, first 2 shown]
	v_fma_f16 v4, v115, v4, -v16
	v_fmac_f16_e32 v18, v115, v32
	v_fma_f16 v16, v114, v17, -v19
	v_fmac_f16_e32 v20, v114, v33
	v_pack_b32_f16 v6, v6, v14
	v_pack_b32_f16 v5, v5, v12
	;; [unrolled: 1-line block ×5, first 2 shown]
	ds_write2_b32 v137, v9, v6 offset0:16 offset1:97
	ds_write2_b32 v152, v8, v5 offset0:3 offset1:84
	;; [unrolled: 1-line block ×5, first 2 shown]
	s_waitcnt lgkmcnt(0)
	s_barrier
	buffer_gl0_inv
	ds_read2_b32 v[24:25], v148 offset1:81
	ds_read2_b32 v[4:5], v148 offset0:162 offset1:243
	ds_read2_b32 v[26:27], v157 offset0:102 offset1:183
	;; [unrolled: 1-line block ×14, first 2 shown]
	s_waitcnt lgkmcnt(0)
	s_barrier
	buffer_gl0_inv
	v_lshrrev_b32_e32 v40, 16, v24
	v_lshrrev_b32_e32 v41, 16, v5
	v_add_f16_e32 v37, v24, v26
	v_add_f16_e32 v60, v5, v21
	v_sub_f16_e32 v43, v26, v28
	v_sub_f16_e32 v56, v38, v30
	v_add_f16_sdwa v57, v28, v30 dst_sel:DWORD dst_unused:UNUSED_PAD src0_sel:WORD_1 src1_sel:WORD_1
	v_add_f16_e32 v44, v23, v19
	v_add_f16_sdwa v48, v23, v19 dst_sel:DWORD dst_unused:UNUSED_PAD src0_sel:WORD_1 src1_sel:WORD_1
	v_add_f16_sdwa v72, v21, v17 dst_sel:DWORD dst_unused:UNUSED_PAD src0_sel:WORD_1 src1_sel:WORD_1
	v_add_f16_e32 v76, v21, v17
	v_add_f16_e32 v42, v28, v30
	v_sub_f16_sdwa v45, v21, v17 dst_sel:DWORD dst_unused:UNUSED_PAD src0_sel:WORD_1 src1_sel:WORD_1
	v_sub_f16_sdwa v46, v23, v19 dst_sel:DWORD dst_unused:UNUSED_PAD src0_sel:WORD_1 src1_sel:WORD_1
	v_sub_f16_e32 v47, v21, v23
	v_sub_f16_e32 v49, v17, v19
	;; [unrolled: 1-line block ×3, first 2 shown]
	v_sub_f16_sdwa v52, v21, v23 dst_sel:DWORD dst_unused:UNUSED_PAD src0_sel:WORD_1 src1_sel:WORD_1
	v_sub_f16_sdwa v53, v17, v19 dst_sel:DWORD dst_unused:UNUSED_PAD src0_sel:WORD_1 src1_sel:WORD_1
	v_add_f16_sdwa v67, v26, v38 dst_sel:DWORD dst_unused:UNUSED_PAD src0_sel:WORD_1 src1_sel:WORD_1
	v_sub_f16_e32 v70, v23, v21
	v_sub_f16_e32 v71, v19, v17
	v_fma_f16 v44, -0.5, v44, v5
	v_fma_f16 v48, -0.5, v48, v41
	v_add_f16_e32 v43, v43, v56
	v_fma_f16 v56, -0.5, v57, v40
	v_add_f16_sdwa v57, v41, v21 dst_sel:DWORD dst_unused:UNUSED_PAD src0_sel:DWORD src1_sel:WORD_1
	v_fmac_f16_e32 v41, -0.5, v72
	v_fma_f16 v5, -0.5, v76, v5
	v_sub_f16_e32 v50, v21, v17
	v_sub_f16_sdwa v58, v26, v28 dst_sel:DWORD dst_unused:UNUSED_PAD src0_sel:WORD_1 src1_sel:WORD_1
	v_sub_f16_sdwa v59, v38, v30 dst_sel:DWORD dst_unused:UNUSED_PAD src0_sel:WORD_1 src1_sel:WORD_1
	;; [unrolled: 1-line block ×3, first 2 shown]
	v_sub_f16_e32 v63, v26, v38
	v_sub_f16_e32 v65, v28, v26
	;; [unrolled: 1-line block ×3, first 2 shown]
	v_sub_f16_sdwa v68, v28, v26 dst_sel:DWORD dst_unused:UNUSED_PAD src0_sel:WORD_1 src1_sel:WORD_1
	v_sub_f16_sdwa v69, v30, v38 dst_sel:DWORD dst_unused:UNUSED_PAD src0_sel:WORD_1 src1_sel:WORD_1
	;; [unrolled: 1-line block ×4, first 2 shown]
	v_add_f16_e32 v75, v26, v38
	v_lshrrev_b32_e32 v32, 16, v25
	v_add_f16_e32 v77, v25, v27
	v_add_f16_e32 v47, v47, v49
	;; [unrolled: 1-line block ×4, first 2 shown]
	v_add_f16_sdwa v26, v40, v26 dst_sel:DWORD dst_unused:UNUSED_PAD src0_sel:DWORD src1_sel:WORD_1
	v_add_f16_e32 v53, v60, v23
	v_fma_f16 v42, -0.5, v42, v24
	v_fmac_f16_e32 v40, -0.5, v67
	v_add_f16_e32 v60, v70, v71
	v_fmamk_f16 v67, v45, 0x3b9c, v44
	v_fmamk_f16 v71, v46, 0xbb9c, v5
	v_fmac_f16_e32 v5, 0x3b9c, v46
	v_fmamk_f16 v72, v51, 0x3b9c, v41
	v_fmac_f16_e32 v41, 0xbb9c, v51
	v_sub_f16_sdwa v62, v28, v30 dst_sel:DWORD dst_unused:UNUSED_PAD src0_sel:WORD_1 src1_sel:WORD_1
	v_sub_f16_e32 v64, v28, v30
	v_sub_f16_e32 v79, v27, v29
	;; [unrolled: 1-line block ×3, first 2 shown]
	v_sub_f16_sdwa v82, v27, v29 dst_sel:DWORD dst_unused:UNUSED_PAD src0_sel:WORD_1 src1_sel:WORD_1
	v_sub_f16_sdwa v83, v29, v27 dst_sel:DWORD dst_unused:UNUSED_PAD src0_sel:WORD_1 src1_sel:WORD_1
	;; [unrolled: 1-line block ×3, first 2 shown]
	v_add_f16_e32 v84, v27, v39
	v_sub_f16_e32 v35, v27, v39
	v_add_f16_sdwa v85, v27, v39 dst_sel:DWORD dst_unused:UNUSED_PAD src0_sel:WORD_1 src1_sel:WORD_1
	v_add_f16_e32 v52, v58, v59
	v_add_f16_e32 v58, v65, v66
	;; [unrolled: 1-line block ×4, first 2 shown]
	v_fma_f16 v66, -0.5, v75, v24
	v_add_f16_sdwa v24, v32, v27 dst_sel:DWORD dst_unused:UNUSED_PAD src0_sel:DWORD src1_sel:WORD_1
	v_add_f16_e32 v27, v77, v29
	v_fmamk_f16 v68, v50, 0xbb9c, v48
	v_add_f16_e32 v37, v37, v30
	v_add_f16_sdwa v26, v26, v28 dst_sel:DWORD dst_unused:UNUSED_PAD src0_sel:DWORD src1_sel:WORD_1
	v_add_f16_e32 v28, v53, v19
	v_add_f16_sdwa v23, v57, v23 dst_sel:DWORD dst_unused:UNUSED_PAD src0_sel:DWORD src1_sel:WORD_1
	v_fmamk_f16 v53, v61, 0x3b9c, v42
	v_fmac_f16_e32 v42, 0xbb9c, v61
	v_fmac_f16_e32 v44, 0xbb9c, v45
	;; [unrolled: 1-line block ×8, first 2 shown]
	v_fmamk_f16 v57, v63, 0xbb9c, v56
	v_fmamk_f16 v69, v62, 0xbb9c, v66
	v_fmac_f16_e32 v66, 0x3b9c, v62
	v_fmamk_f16 v70, v64, 0x3b9c, v40
	v_fmac_f16_e32 v40, 0xbb9c, v64
	v_add_f16_sdwa v24, v24, v29 dst_sel:DWORD dst_unused:UNUSED_PAD src0_sel:DWORD src1_sel:WORD_1
	v_add_f16_e32 v73, v27, v31
	v_fmac_f16_e32 v68, 0xb8b4, v51
	v_add_f16_e32 v27, v37, v38
	v_fmac_f16_e32 v53, 0x38b4, v62
	v_add_f16_sdwa v26, v26, v30 dst_sel:DWORD dst_unused:UNUSED_PAD src0_sel:DWORD src1_sel:WORD_1
	v_add_f16_sdwa v19, v23, v19 dst_sel:DWORD dst_unused:UNUSED_PAD src0_sel:DWORD src1_sel:WORD_1
	v_add_f16_e32 v23, v28, v17
	v_fmac_f16_e32 v42, 0xb8b4, v62
	v_fmac_f16_e32 v44, 0xb8b4, v46
	v_fmac_f16_e32 v48, 0x38b4, v51
	v_fmac_f16_e32 v67, 0x34f2, v47
	v_fmac_f16_e32 v71, 0x34f2, v60
	v_fmac_f16_e32 v5, 0x34f2, v60
	v_fmac_f16_e32 v72, 0x34f2, v65
	v_fmac_f16_e32 v41, 0x34f2, v65
	v_add_f16_e32 v78, v29, v31
	v_sub_f16_sdwa v33, v29, v31 dst_sel:DWORD dst_unused:UNUSED_PAD src0_sel:WORD_1 src1_sel:WORD_1
	v_add_f16_sdwa v81, v29, v31 dst_sel:DWORD dst_unused:UNUSED_PAD src0_sel:WORD_1 src1_sel:WORD_1
	v_sub_f16_e32 v34, v29, v31
	v_fmac_f16_e32 v56, 0x3b9c, v63
	v_fmac_f16_e32 v57, 0xb8b4, v64
	;; [unrolled: 1-line block ×6, first 2 shown]
	v_add_f16_sdwa v30, v24, v31 dst_sel:DWORD dst_unused:UNUSED_PAD src0_sel:DWORD src1_sel:WORD_1
	v_fmac_f16_e32 v68, 0x34f2, v49
	v_add_f16_sdwa v24, v26, v38 dst_sel:DWORD dst_unused:UNUSED_PAD src0_sel:DWORD src1_sel:WORD_1
	v_add_f16_sdwa v17, v19, v17 dst_sel:DWORD dst_unused:UNUSED_PAD src0_sel:DWORD src1_sel:WORD_1
	v_fmac_f16_e32 v53, 0x34f2, v43
	v_add_f16_e32 v19, v27, v23
	v_fmac_f16_e32 v42, 0x34f2, v43
	v_fmac_f16_e32 v44, 0x34f2, v47
	;; [unrolled: 1-line block ×3, first 2 shown]
	v_sub_f16_e32 v23, v27, v23
	v_mul_f16_e32 v26, 0x3a79, v67
	v_mul_f16_e32 v27, 0xb8b4, v67
	;; [unrolled: 1-line block ×6, first 2 shown]
	v_fmac_f16_e32 v56, 0x38b4, v64
	v_fmac_f16_e32 v57, 0x34f2, v52
	;; [unrolled: 1-line block ×6, first 2 shown]
	v_add_f16_e32 v28, v24, v17
	v_sub_f16_e32 v17, v24, v17
	v_mul_f16_e32 v46, 0xba79, v44
	v_mul_f16_e32 v47, 0xba79, v48
	v_fmac_f16_e32 v26, 0x38b4, v68
	v_fmac_f16_e32 v27, 0x3a79, v68
	;; [unrolled: 1-line block ×7, first 2 shown]
	v_pack_b32_f16 v37, v19, v28
	v_fmac_f16_e32 v46, 0x38b4, v48
	v_fmac_f16_e32 v47, 0xb8b4, v44
	v_pack_b32_f16 v24, v23, v17
	v_add_f16_e32 v5, v53, v26
	v_add_f16_e32 v17, v57, v27
	;; [unrolled: 1-line block ×6, first 2 shown]
	v_fma_f16 v21, -0.5, v78, v25
	v_fmac_f16_e32 v25, -0.5, v84
	v_add_f16_e32 v48, v42, v46
	v_add_f16_e32 v49, v56, v47
	v_sub_f16_e32 v42, v42, v46
	v_sub_f16_e32 v46, v56, v47
	;; [unrolled: 1-line block ×3, first 2 shown]
	v_pack_b32_f16 v38, v5, v17
	v_pack_b32_f16 v41, v19, v23
	;; [unrolled: 1-line block ×3, first 2 shown]
	v_sub_f16_e32 v5, v31, v39
	v_add_f16_sdwa v17, v30, v39 dst_sel:DWORD dst_unused:UNUSED_PAD src0_sel:DWORD src1_sel:WORD_1
	v_add_f16_e32 v30, v12, v8
	v_sub_f16_e32 v26, v53, v26
	ds_write2_b64 v159, v[37:38], v[40:41] offset1:1
	v_fmamk_f16 v38, v33, 0xbb9c, v25
	v_fmac_f16_e32 v25, 0x3b9c, v33
	v_add_f16_e32 v5, v80, v5
	v_add_f16_sdwa v40, v14, v10 dst_sel:DWORD dst_unused:UNUSED_PAD src0_sel:WORD_1 src1_sel:WORD_1
	v_add_f16_sdwa v41, v12, v8 dst_sel:DWORD dst_unused:UNUSED_PAD src0_sel:WORD_1 src1_sel:WORD_1
	v_fmac_f16_e32 v38, 0x38b4, v36
	v_fmac_f16_e32 v25, 0xb8b4, v36
	v_sub_f16_e32 v43, v69, v43
	v_sub_f16_e32 v27, v57, v27
	;; [unrolled: 1-line block ×3, first 2 shown]
	v_fmac_f16_e32 v38, 0x34f2, v5
	v_fmac_f16_e32 v25, 0x34f2, v5
	v_fma_f16 v5, -0.5, v30, v6
	v_lshrrev_b32_e32 v30, 16, v6
	v_sub_f16_e32 v50, v66, v29
	v_sub_f16_e32 v86, v39, v31
	v_pack_b32_f16 v28, v26, v27
	v_pack_b32_f16 v29, v43, v45
	v_fma_f16 v40, -0.5, v40, v30
	v_add_f16_sdwa v59, v30, v12 dst_sel:DWORD dst_unused:UNUSED_PAD src0_sel:DWORD src1_sel:WORD_1
	v_fmac_f16_e32 v30, -0.5, v41
	v_sub_f16_e32 v41, v14, v10
	v_pack_b32_f16 v23, v48, v49
	v_pack_b32_f16 v26, v50, v47
	v_sub_f16_sdwa v49, v39, v31 dst_sel:DWORD dst_unused:UNUSED_PAD src0_sel:WORD_1 src1_sel:WORD_1
	v_sub_f16_sdwa v31, v31, v39 dst_sel:DWORD dst_unused:UNUSED_PAD src0_sel:WORD_1 src1_sel:WORD_1
	v_add_f16_e32 v19, v73, v39
	v_sub_f16_sdwa v39, v14, v10 dst_sel:DWORD dst_unused:UNUSED_PAD src0_sel:WORD_1 src1_sel:WORD_1
	v_sub_f16_sdwa v47, v14, v12 dst_sel:DWORD dst_unused:UNUSED_PAD src0_sel:WORD_1 src1_sel:WORD_1
	;; [unrolled: 1-line block ×3, first 2 shown]
	v_fmamk_f16 v51, v41, 0x3b9c, v30
	v_fmac_f16_e32 v30, 0xbb9c, v41
	v_sub_f16_e32 v45, v12, v8
	v_pack_b32_f16 v27, v42, v46
	v_sub_f16_e32 v42, v14, v12
	v_sub_f16_e32 v46, v10, v8
	v_fmamk_f16 v50, v39, 0xbb9c, v5
	v_fmac_f16_e32 v5, 0x3b9c, v39
	v_sub_f16_sdwa v44, v12, v8 dst_sel:DWORD dst_unused:UNUSED_PAD src0_sel:WORD_1 src1_sel:WORD_1
	v_add_f16_e32 v47, v47, v48
	v_fmac_f16_e32 v30, 0x38b4, v45
	v_add_f16_e32 v46, v42, v46
	v_fma_f16 v37, -0.5, v81, v32
	v_fmac_f16_e32 v5, 0xb8b4, v44
	v_fmac_f16_e32 v32, -0.5, v85
	v_fmac_f16_e32 v30, 0x34f2, v47
	v_fmac_f16_e32 v51, 0xb8b4, v45
	;; [unrolled: 1-line block ×4, first 2 shown]
	v_fmamk_f16 v43, v34, 0x3b9c, v32
	v_mul_f16_e32 v42, 0xb4f2, v30
	v_fmac_f16_e32 v32, 0xbb9c, v34
	v_add_f16_e32 v31, v83, v31
	v_mul_f16_e32 v58, 0xb4f2, v5
	v_fmac_f16_e32 v43, 0xb8b4, v35
	v_fmac_f16_e32 v42, 0xbb9c, v5
	v_add_f16_e32 v5, v14, v10
	v_fmac_f16_e32 v32, 0x38b4, v35
	v_fmac_f16_e32 v51, 0x34f2, v47
	;; [unrolled: 1-line block ×4, first 2 shown]
	v_fma_f16 v47, -0.5, v5, v6
	v_fmac_f16_e32 v32, 0x34f2, v31
	v_sub_f16_e32 v5, v12, v14
	v_mul_f16_e32 v48, 0xbb9c, v50
	v_sub_f16_e32 v31, v8, v10
	v_fmamk_f16 v56, v44, 0x3b9c, v47
	v_fmac_f16_e32 v58, 0x3b9c, v30
	v_mul_f16_e32 v46, 0x3b9c, v51
	v_fmac_f16_e32 v48, 0x34f2, v51
	v_add_f16_e32 v51, v5, v31
	v_fmac_f16_e32 v56, 0x38b4, v39
	v_add_f16_e32 v30, v25, v58
	v_add_f16_e32 v52, v32, v42
	v_fmac_f16_e32 v46, 0x34f2, v50
	v_sub_f16_sdwa v50, v12, v14 dst_sel:DWORD dst_unused:UNUSED_PAD src0_sel:WORD_1 src1_sel:WORD_1
	v_sub_f16_sdwa v53, v8, v10 dst_sel:DWORD dst_unused:UNUSED_PAD src0_sel:WORD_1 src1_sel:WORD_1
	v_fmamk_f16 v60, v45, 0xbb9c, v40
	v_fmac_f16_e32 v56, 0x34f2, v51
	v_pack_b32_f16 v31, v30, v52
	v_add_f16_e32 v5, v6, v12
	v_add_f16_e32 v52, v50, v53
	v_fmac_f16_e32 v60, 0xb8b4, v41
	v_mul_f16_e32 v53, 0x3a79, v56
	v_mul_f16_e32 v12, 0xb8b4, v56
	v_fmamk_f16 v56, v36, 0x3b9c, v21
	v_fmamk_f16 v57, v35, 0xbb9c, v37
	v_add_f16_e32 v50, v79, v86
	v_add_f16_e32 v49, v82, v49
	v_fmac_f16_e32 v60, 0x34f2, v52
	v_add_f16_e32 v5, v5, v14
	v_add_f16_sdwa v6, v59, v14 dst_sel:DWORD dst_unused:UNUSED_PAD src0_sel:DWORD src1_sel:WORD_1
	v_fmac_f16_e32 v56, 0x38b4, v33
	v_fmac_f16_e32 v57, 0xb8b4, v34
	;; [unrolled: 1-line block ×3, first 2 shown]
	v_add_f16_e32 v5, v5, v10
	v_add_f16_sdwa v6, v6, v10 dst_sel:DWORD dst_unused:UNUSED_PAD src0_sel:DWORD src1_sel:WORD_1
	v_fmac_f16_e32 v12, 0x3a79, v60
	v_fmac_f16_e32 v56, 0x34f2, v50
	;; [unrolled: 1-line block ×3, first 2 shown]
	v_add_f16_e32 v30, v38, v46
	v_add_f16_e32 v14, v43, v48
	;; [unrolled: 1-line block ×3, first 2 shown]
	v_add_f16_sdwa v6, v6, v8 dst_sel:DWORD dst_unused:UNUSED_PAD src0_sel:DWORD src1_sel:WORD_1
	v_add_f16_e32 v8, v56, v53
	v_add_f16_e32 v60, v57, v12
	v_pack_b32_f16 v30, v30, v14
	v_lshrrev_b32_e32 v14, 16, v4
	v_add_f16_e32 v59, v19, v10
	v_add_f16_e32 v61, v17, v6
	v_pack_b32_f16 v60, v8, v60
	v_add_f16_e32 v8, v4, v20
	ds_write2_b64 v159, v[23:24], v[28:29] offset0:2 offset1:3
	v_add_f16_sdwa v23, v14, v20 dst_sel:DWORD dst_unused:UNUSED_PAD src0_sel:DWORD src1_sel:WORD_1
	v_add_co_u32 v5, s0, 0x51, v145
	v_add_f16_e32 v8, v8, v22
	v_pack_b32_f16 v59, v59, v61
	v_add_f16_sdwa v23, v23, v22 dst_sel:DWORD dst_unused:UNUSED_PAD src0_sel:DWORD src1_sel:WORD_1
	v_lshrrev_b32_e32 v61, 16, v7
	v_add_f16_e32 v66, v7, v13
	v_add_f16_e32 v8, v8, v18
	v_mul_u32_u24_e32 v62, 10, v5
	v_add_f16_sdwa v23, v23, v18 dst_sel:DWORD dst_unused:UNUSED_PAD src0_sel:DWORD src1_sel:WORD_1
	v_add_f16_sdwa v67, v61, v13 dst_sel:DWORD dst_unused:UNUSED_PAD src0_sel:DWORD src1_sel:WORD_1
	v_add_f16_e32 v74, v13, v9
	v_add_f16_e32 v68, v8, v16
	;; [unrolled: 1-line block ×4, first 2 shown]
	v_lshlrev_b32_e32 v171, 2, v62
	ds_write_b64 v159, v[26:27] offset:32
	ds_write2_b64 v171, v[59:60], v[30:31] offset1:1
	v_sub_f16_e32 v24, v25, v58
	v_add_f16_e32 v25, v22, v18
	v_sub_f16_sdwa v26, v22, v18 dst_sel:DWORD dst_unused:UNUSED_PAD src0_sel:WORD_1 src1_sel:WORD_1
	v_sub_f16_e32 v27, v20, v22
	v_sub_f16_e32 v28, v22, v20
	v_add_f16_sdwa v29, v22, v18 dst_sel:DWORD dst_unused:UNUSED_PAD src0_sel:WORD_1 src1_sel:WORD_1
	v_sub_f16_e32 v30, v22, v18
	v_sub_f16_sdwa v31, v20, v22 dst_sel:DWORD dst_unused:UNUSED_PAD src0_sel:WORD_1 src1_sel:WORD_1
	v_sub_f16_sdwa v22, v22, v20 dst_sel:DWORD dst_unused:UNUSED_PAD src0_sel:WORD_1 src1_sel:WORD_1
	;; [unrolled: 1-line block ×3, first 2 shown]
	v_add_f16_e32 v59, v20, v16
	v_sub_f16_e32 v60, v20, v16
	v_add_f16_sdwa v20, v20, v16 dst_sel:DWORD dst_unused:UNUSED_PAD src0_sel:WORD_1 src1_sel:WORD_1
	v_sub_f16_e32 v62, v16, v18
	v_sub_f16_e32 v63, v18, v16
	v_sub_f16_sdwa v65, v16, v18 dst_sel:DWORD dst_unused:UNUSED_PAD src0_sel:WORD_1 src1_sel:WORD_1
	v_sub_f16_sdwa v18, v18, v16 dst_sel:DWORD dst_unused:UNUSED_PAD src0_sel:WORD_1 src1_sel:WORD_1
	v_add_f16_sdwa v16, v23, v16 dst_sel:DWORD dst_unused:UNUSED_PAD src0_sel:DWORD src1_sel:WORD_1
	v_add_f16_sdwa v23, v67, v15 dst_sel:DWORD dst_unused:UNUSED_PAD src0_sel:DWORD src1_sel:WORD_1
	v_sub_f16_sdwa v67, v15, v11 dst_sel:DWORD dst_unused:UNUSED_PAD src0_sel:WORD_1 src1_sel:WORD_1
	v_add_f16_sdwa v71, v15, v11 dst_sel:DWORD dst_unused:UNUSED_PAD src0_sel:WORD_1 src1_sel:WORD_1
	v_add_f16_sdwa v76, v13, v9 dst_sel:DWORD dst_unused:UNUSED_PAD src0_sel:WORD_1 src1_sel:WORD_1
	v_fma_f16 v66, -0.5, v66, v7
	v_fmac_f16_e32 v7, -0.5, v74
	v_sub_f16_e32 v70, v15, v13
	v_sub_f16_e32 v72, v15, v11
	v_sub_f16_sdwa v75, v13, v9 dst_sel:DWORD dst_unused:UNUSED_PAD src0_sel:WORD_1 src1_sel:WORD_1
	v_sub_f16_e32 v74, v11, v9
	v_fma_f16 v71, -0.5, v71, v61
	v_fmac_f16_e32 v61, -0.5, v76
	v_fmamk_f16 v76, v67, 0xbb9c, v7
	v_fmac_f16_e32 v7, 0x3b9c, v67
	v_sub_f16_e32 v69, v13, v15
	v_sub_f16_sdwa v73, v13, v15 dst_sel:DWORD dst_unused:UNUSED_PAD src0_sel:WORD_1 src1_sel:WORD_1
	v_sub_f16_sdwa v15, v15, v13 dst_sel:DWORD dst_unused:UNUSED_PAD src0_sel:WORD_1 src1_sel:WORD_1
	v_sub_f16_e32 v13, v13, v9
	v_sub_f16_sdwa v77, v11, v9 dst_sel:DWORD dst_unused:UNUSED_PAD src0_sel:WORD_1 src1_sel:WORD_1
	v_add_f16_e32 v70, v70, v74
	v_fmamk_f16 v74, v72, 0x3b9c, v61
	v_fmac_f16_e32 v61, 0xbb9c, v72
	v_fmac_f16_e32 v7, 0xb8b4, v75
	v_add_f16_e32 v15, v15, v77
	v_fma_f16 v25, -0.5, v25, v4
	v_fmac_f16_e32 v4, -0.5, v59
	v_fmac_f16_e32 v61, 0x38b4, v13
	v_fmac_f16_e32 v7, 0x34f2, v70
	v_add_f16_e32 v8, v8, v11
	v_add_f16_sdwa v23, v23, v11 dst_sel:DWORD dst_unused:UNUSED_PAD src0_sel:DWORD src1_sel:WORD_1
	v_fmac_f16_e32 v40, 0x3b9c, v45
	v_fmac_f16_e32 v61, 0x34f2, v15
	v_mul_f16_e32 v77, 0xb4f2, v7
	v_fma_f16 v29, -0.5, v29, v14
	v_fmac_f16_e32 v14, -0.5, v20
	v_fmamk_f16 v59, v26, 0xbb9c, v4
	v_fmac_f16_e32 v4, 0x3b9c, v26
	v_add_f16_e32 v28, v28, v63
	v_sub_f16_e32 v63, v9, v11
	v_sub_f16_sdwa v78, v9, v11 dst_sel:DWORD dst_unused:UNUSED_PAD src0_sel:WORD_1 src1_sel:WORD_1
	v_mul_f16_e32 v79, 0xb4f2, v61
	v_fmac_f16_e32 v77, 0x3b9c, v61
	v_add_f16_e32 v61, v8, v9
	v_add_f16_sdwa v9, v23, v9 dst_sel:DWORD dst_unused:UNUSED_PAD src0_sel:DWORD src1_sel:WORD_1
	v_fmac_f16_e32 v47, 0xbb9c, v44
	v_sub_f16_e32 v23, v38, v46
	v_sub_f16_e32 v11, v57, v12
	v_fmac_f16_e32 v40, 0x38b4, v41
	v_sub_f16_e32 v12, v43, v48
	v_fmamk_f16 v20, v30, 0x3b9c, v14
	v_fmac_f16_e32 v14, 0xbb9c, v30
	v_fmac_f16_e32 v4, 0xb8b4, v58
	v_sub_f16_e32 v8, v56, v53
	v_fmac_f16_e32 v47, 0xb8b4, v39
	v_fmac_f16_e32 v37, 0x3b9c, v35
	;; [unrolled: 1-line block ×3, first 2 shown]
	v_pack_b32_f16 v12, v23, v12
	v_fmamk_f16 v23, v58, 0x3b9c, v25
	v_fmac_f16_e32 v25, 0xbb9c, v58
	v_fmac_f16_e32 v59, 0x38b4, v58
	v_add_f16_e32 v18, v22, v18
	v_fmamk_f16 v22, v75, 0x3b9c, v66
	v_fmac_f16_e32 v66, 0xbb9c, v75
	v_fmac_f16_e32 v20, 0xb8b4, v60
	;; [unrolled: 1-line block ×5, first 2 shown]
	v_pack_b32_f16 v11, v8, v11
	v_fmac_f16_e32 v37, 0x38b4, v34
	v_mul_f16_e32 v8, 0xba79, v40
	v_sub_f16_e32 v17, v17, v6
	v_add_f16_e32 v6, v27, v62
	v_fmac_f16_e32 v23, 0x38b4, v26
	v_fmac_f16_e32 v25, 0xb8b4, v26
	;; [unrolled: 1-line block ×3, first 2 shown]
	v_add_f16_e32 v28, v69, v63
	v_fmac_f16_e32 v22, 0x38b4, v67
	v_fmac_f16_e32 v66, 0xb8b4, v67
	;; [unrolled: 1-line block ×4, first 2 shown]
	v_fmamk_f16 v18, v13, 0xbb9c, v71
	v_fmac_f16_e32 v37, 0x34f2, v49
	v_fmac_f16_e32 v8, 0xb8b4, v47
	;; [unrolled: 1-line block ×4, first 2 shown]
	v_fmamk_f16 v6, v60, 0xbb9c, v29
	v_fmac_f16_e32 v22, 0x34f2, v28
	v_fmac_f16_e32 v66, 0x34f2, v28
	v_add_f16_e32 v28, v73, v78
	v_fmac_f16_e32 v18, 0xb8b4, v72
	v_add_f16_e32 v26, v37, v8
	v_sub_f16_e32 v27, v37, v8
	v_add_f16_e32 v8, v31, v65
	v_fmac_f16_e32 v6, 0xb8b4, v30
	v_fmac_f16_e32 v74, 0xb8b4, v13
	;; [unrolled: 1-line block ×4, first 2 shown]
	v_mul_f16_e32 v13, 0x3a79, v22
	v_mul_f16_e32 v22, 0xb8b4, v22
	v_fmac_f16_e32 v21, 0xbb9c, v36
	v_fmac_f16_e32 v6, 0x34f2, v8
	v_sub_f16_e32 v10, v19, v10
	v_fmac_f16_e32 v13, 0x38b4, v18
	v_fmac_f16_e32 v22, 0x3a79, v18
	;; [unrolled: 1-line block ×3, first 2 shown]
	v_mul_f16_e32 v33, 0xba79, v47
	v_fmac_f16_e32 v29, 0x3b9c, v60
	v_fmac_f16_e32 v76, 0x38b4, v75
	;; [unrolled: 1-line block ×3, first 2 shown]
	v_add_f16_e32 v34, v23, v13
	v_sub_f16_e32 v23, v23, v13
	v_add_f16_e32 v13, v6, v22
	v_sub_f16_e32 v22, v6, v22
	v_and_b32_e32 v6, 0xff, v54
	v_fmac_f16_e32 v21, 0x34f2, v50
	v_fmac_f16_e32 v33, 0x38b4, v40
	;; [unrolled: 1-line block ×6, first 2 shown]
	v_mul_f16_e32 v28, 0xba79, v66
	v_pack_b32_f16 v10, v10, v17
	v_mul_lo_u16 v17, 0xcd, v6
	v_fmac_f16_e32 v79, 0xbb9c, v7
	v_add_f16_e32 v19, v21, v33
	v_fmac_f16_e32 v29, 0x34f2, v8
	v_add_co_u32 v8, null, 0xa2, v145
	v_mul_f16_e32 v15, 0x3b9c, v74
	v_mul_f16_e32 v30, 0xbb9c, v76
	v_fmac_f16_e32 v28, 0x38b4, v71
	v_mul_f16_e32 v31, 0xba79, v71
	v_lshrrev_b16 v18, 11, v17
	v_add_f16_e32 v7, v4, v77
	v_fmac_f16_e32 v15, 0x34f2, v76
	v_fmac_f16_e32 v30, 0x34f2, v74
	;; [unrolled: 1-line block ×3, first 2 shown]
	v_add_f16_e32 v37, v25, v28
	v_add_f16_e32 v38, v16, v9
	v_sub_f16_e32 v25, v25, v28
	v_sub_f16_e32 v28, v16, v9
	v_add_f16_e32 v16, v14, v79
	v_pack_b32_f16 v9, v19, v26
	v_sub_f16_e32 v26, v14, v79
	v_mul_u32_u24_e32 v14, 10, v8
	v_mul_lo_u16 v17, v18, 10
	v_add_f16_e32 v35, v59, v15
	v_sub_f16_e32 v39, v59, v15
	v_add_f16_e32 v15, v20, v30
	v_sub_f16_e32 v19, v29, v31
	v_lshlrev_b32_e32 v176, 2, v14
	v_pack_b32_f16 v14, v7, v16
	v_sub_nc_u16 v7, v54, v17
	v_sub_f16_e32 v4, v4, v77
	v_sub_f16_e32 v21, v21, v33
	;; [unrolled: 1-line block ×3, first 2 shown]
	ds_write2_b64 v171, v[9:10], v[11:12] offset0:2 offset1:3
	v_pack_b32_f16 v12, v34, v13
	v_pack_b32_f16 v13, v35, v15
	;; [unrolled: 1-line block ×4, first 2 shown]
	v_and_b32_e32 v19, 0xff, v7
	v_add_f16_e32 v33, v68, v61
	v_sub_f16_e32 v36, v68, v61
	v_sub_f16_e32 v20, v20, v30
	v_add_f16_e32 v30, v29, v31
	v_pack_b32_f16 v10, v21, v27
	v_pack_b32_f16 v9, v24, v32
	;; [unrolled: 1-line block ×3, first 2 shown]
	v_lshlrev_b32_e32 v4, 3, v19
	v_and_b32_e32 v7, 0xff, v5
	v_pack_b32_f16 v11, v33, v38
	v_pack_b32_f16 v16, v39, v20
	;; [unrolled: 1-line block ×4, first 2 shown]
	ds_write_b64 v171, v[9:10] offset:32
	ds_write2_b64 v176, v[11:12], v[13:14] offset1:1
	ds_write2_b64 v176, v[20:21], v[15:16] offset0:2 offset1:3
	ds_write_b64 v176, v[22:23] offset:32
	s_waitcnt lgkmcnt(0)
	s_barrier
	buffer_gl0_inv
	global_load_dwordx2 v[14:15], v4, s[2:3]
	v_mul_lo_u16 v4, 0xcd, v7
	v_add_co_ci_u32_e64 v64, null, 0, 0, s0
	v_mov_b32_e32 v20, 0xcccd
	v_add_co_u32 v56, s0, 0xf3, v145
	v_lshrrev_b16 v17, 11, v4
	v_add_co_u32 v59, null, 0x144, v145
	v_mul_u32_u24_sdwa v22, v56, v20 dst_sel:DWORD dst_unused:UNUSED_PAD src0_sel:WORD_0 src1_sel:DWORD
	v_add_co_u32 v58, null, 0x195, v145
	v_mul_lo_u16 v4, v17, 10
	v_add_co_u32 v67, null, 0x1e6, v145
	v_lshrrev_b32_e32 v48, 19, v22
	v_mul_u32_u24_sdwa v22, v58, v20 dst_sel:DWORD dst_unused:UNUSED_PAD src0_sel:WORD_0 src1_sel:DWORD
	v_sub_nc_u16 v4, v5, v4
	v_add_co_u32 v66, null, 0x237, v145
	v_add_co_u32 v72, null, 0x288, v145
	v_and_b32_e32 v16, 0xff, v4
	v_and_b32_e32 v4, 0xff, v8
	v_lshrrev_b32_e32 v52, 19, v22
	v_mul_u32_u24_sdwa v22, v66, v20 dst_sel:DWORD dst_unused:UNUSED_PAD src0_sel:WORD_0 src1_sel:DWORD
	v_add_co_u32 v74, null, 0x2d9, v145
	v_lshlrev_b32_e32 v9, 3, v16
	v_mov_b32_e32 v73, 30
	v_lshrrev_b32_e32 v61, 19, v22
	v_mul_lo_u16 v6, 0x89, v6
	global_load_dwordx2 v[12:13], v9, s[2:3]
	v_mul_lo_u16 v9, 0xcd, v4
	v_mul_u32_u24_sdwa v18, v18, v73 dst_sel:DWORD dst_unused:UNUSED_PAD src0_sel:WORD_0 src1_sel:DWORD
	v_mul_u32_u24_sdwa v17, v17, v73 dst_sel:DWORD dst_unused:UNUSED_PAD src0_sel:WORD_0 src1_sel:DWORD
	v_lshrrev_b16 v11, 11, v9
	v_add_lshl_u32 v189, v18, v19, 2
	v_add_lshl_u32 v193, v17, v16, 2
	v_mul_lo_u16 v9, v11, 10
	v_mul_u32_u24_sdwa v11, v11, v73 dst_sel:DWORD dst_unused:UNUSED_PAD src0_sel:WORD_0 src1_sel:DWORD
	v_sub_nc_u16 v9, v8, v9
	v_and_b32_e32 v10, 0xff, v9
	v_add_co_ci_u32_e64 v9, null, 0, 0, s0
	v_lshlrev_b32_e32 v21, 3, v10
	v_add_lshl_u32 v192, v11, v10, 2
	global_load_dwordx2 v[102:103], v21, s[2:3]
	v_mul_lo_u16 v21, v48, 10
	v_sub_nc_u16 v49, v56, v21
	v_lshlrev_b16 v21, 1, v49
	v_lshlrev_b32_sdwa v21, v55, v21 dst_sel:DWORD dst_unused:UNUSED_PAD src0_sel:DWORD src1_sel:WORD_0
	global_load_dwordx2 v[100:101], v21, s[2:3]
	v_mul_u32_u24_sdwa v21, v59, v20 dst_sel:DWORD dst_unused:UNUSED_PAD src0_sel:WORD_0 src1_sel:DWORD
	v_lshrrev_b32_e32 v50, 19, v21
	v_mul_lo_u16 v21, v50, 10
	v_sub_nc_u16 v51, v59, v21
	v_lshlrev_b16 v21, 1, v51
	v_lshlrev_b32_sdwa v21, v55, v21 dst_sel:DWORD dst_unused:UNUSED_PAD src0_sel:DWORD src1_sel:WORD_0
	global_load_dwordx2 v[98:99], v21, s[2:3]
	v_mul_lo_u16 v21, v52, 10
	v_sub_nc_u16 v53, v58, v21
	v_lshlrev_b16 v21, 1, v53
	v_lshlrev_b32_sdwa v21, v55, v21 dst_sel:DWORD dst_unused:UNUSED_PAD src0_sel:DWORD src1_sel:WORD_0
	global_load_dwordx2 v[96:97], v21, s[2:3]
	v_mul_u32_u24_sdwa v21, v67, v20 dst_sel:DWORD dst_unused:UNUSED_PAD src0_sel:WORD_0 src1_sel:DWORD
	v_lshrrev_b32_e32 v57, 19, v21
	v_mul_lo_u16 v21, v57, 10
	v_sub_nc_u16 v60, v67, v21
	v_lshlrev_b16 v21, 1, v60
	v_lshlrev_b32_sdwa v21, v55, v21 dst_sel:DWORD dst_unused:UNUSED_PAD src0_sel:DWORD src1_sel:WORD_0
	global_load_dwordx2 v[90:91], v21, s[2:3]
	v_mul_lo_u16 v21, v61, 10
	v_sub_nc_u16 v62, v66, v21
	v_lshlrev_b16 v21, 1, v62
	v_lshlrev_b32_sdwa v21, v55, v21 dst_sel:DWORD dst_unused:UNUSED_PAD src0_sel:DWORD src1_sel:WORD_0
	global_load_dwordx2 v[94:95], v21, s[2:3]
	v_mul_u32_u24_sdwa v21, v72, v20 dst_sel:DWORD dst_unused:UNUSED_PAD src0_sel:WORD_0 src1_sel:DWORD
	v_mul_u32_u24_sdwa v20, v74, v20 dst_sel:DWORD dst_unused:UNUSED_PAD src0_sel:WORD_0 src1_sel:DWORD
	v_lshrrev_b32_e32 v63, 19, v21
	v_lshrrev_b32_e32 v68, 19, v20
	v_mul_lo_u16 v21, v63, 10
	v_mul_lo_u16 v20, v68, 10
	v_sub_nc_u16 v65, v72, v21
	v_sub_nc_u16 v69, v74, v20
	v_lshlrev_b16 v21, 1, v65
	v_lshlrev_b16 v20, 1, v69
	v_lshlrev_b32_sdwa v21, v55, v21 dst_sel:DWORD dst_unused:UNUSED_PAD src0_sel:DWORD src1_sel:WORD_0
	v_lshlrev_b32_sdwa v20, v55, v20 dst_sel:DWORD dst_unused:UNUSED_PAD src0_sel:DWORD src1_sel:WORD_0
	s_clause 0x1
	global_load_dwordx2 v[92:93], v21, s[2:3]
	global_load_dwordx2 v[88:89], v20, s[2:3]
	ds_read2_b32 v[20:21], v140 offset0:42 offset1:123
	ds_read2_b32 v[22:23], v152 offset0:84 offset1:165
	ds_read2_b32 v[24:25], v148 offset1:81
	s_waitcnt lgkmcnt(2)
	v_lshrrev_b32_e32 v26, 16, v20
	s_waitcnt lgkmcnt(1)
	v_lshrrev_b32_e32 v27, 16, v22
	;; [unrolled: 2-line block ×3, first 2 shown]
	v_lshrrev_b32_e32 v76, 16, v21
	v_lshrrev_b32_e32 v77, 16, v23
	s_waitcnt vmcnt(9)
	v_mul_f16_sdwa v28, v20, v14 dst_sel:DWORD dst_unused:UNUSED_PAD src0_sel:DWORD src1_sel:WORD_1
	v_mul_f16_sdwa v29, v22, v15 dst_sel:DWORD dst_unused:UNUSED_PAD src0_sel:DWORD src1_sel:WORD_1
	;; [unrolled: 1-line block ×4, first 2 shown]
	v_fmac_f16_e32 v28, v26, v14
	v_fmac_f16_e32 v29, v27, v15
	v_fma_f16 v20, v20, v14, -v30
	v_fma_f16 v22, v22, v15, -v31
	v_add_f16_e32 v27, v70, v28
	v_add_f16_e32 v26, v28, v29
	v_sub_f16_e32 v71, v28, v29
	v_add_f16_e32 v30, v20, v22
	v_add_f16_e32 v27, v27, v29
	v_fmac_f16_e32 v70, -0.5, v26
	v_add_f16_e32 v26, v24, v20
	v_fma_f16 v24, -0.5, v30, v24
	v_sub_f16_e32 v20, v20, v22
	v_add_f16_e32 v22, v26, v22
	v_fmamk_f16 v26, v71, 0x3aee, v24
	v_fmamk_f16 v28, v20, 0xbaee, v70
	v_fmac_f16_e32 v24, 0xbaee, v71
	v_lshrrev_b32_e32 v71, 16, v25
	v_pack_b32_f16 v22, v22, v27
	v_fmac_f16_e32 v70, 0x3aee, v20
	v_pack_b32_f16 v75, v26, v28
	ds_read2_b32 v[18:19], v148 offset0:162 offset1:243
	ds_read2_b32 v[26:27], v155 offset0:76 offset1:157
	;; [unrolled: 1-line block ×12, first 2 shown]
	s_waitcnt vmcnt(0) lgkmcnt(0)
	s_barrier
	v_mul_f16_sdwa v78, v76, v12 dst_sel:DWORD dst_unused:UNUSED_PAD src0_sel:DWORD src1_sel:WORD_1
	v_mul_f16_sdwa v80, v21, v12 dst_sel:DWORD dst_unused:UNUSED_PAD src0_sel:DWORD src1_sel:WORD_1
	;; [unrolled: 1-line block ×4, first 2 shown]
	buffer_gl0_inv
	v_fma_f16 v21, v21, v12, -v78
	v_fmac_f16_e32 v80, v76, v12
	v_fmac_f16_e32 v81, v77, v13
	v_fma_f16 v23, v23, v13, -v79
	v_pack_b32_f16 v24, v24, v70
	v_add_f16_e32 v77, v25, v21
	v_add_f16_e32 v78, v71, v80
	;; [unrolled: 1-line block ×4, first 2 shown]
	ds_write2_b32 v189, v22, v75 offset1:10
	v_lshrrev_b32_e32 v22, 16, v28
	ds_write_b32 v189, v24 offset:80
	v_fmac_f16_e32 v71, -0.5, v20
	v_sub_f16_e32 v20, v21, v23
	v_add_f16_e32 v21, v78, v81
	v_add_f16_e32 v23, v77, v23
	v_fmac_f16_e32 v25, -0.5, v76
	v_sub_f16_e32 v76, v80, v81
	v_fmamk_f16 v78, v20, 0xbaee, v71
	v_fmac_f16_e32 v71, 0x3aee, v20
	v_pack_b32_f16 v16, v23, v21
	v_lshrrev_b32_e32 v21, 16, v26
	v_fmamk_f16 v77, v76, 0x3aee, v25
	v_fmac_f16_e32 v25, 0xbaee, v76
	v_mul_f16_sdwa v23, v26, v102 dst_sel:DWORD dst_unused:UNUSED_PAD src0_sel:DWORD src1_sel:WORD_1
	v_mul_f16_sdwa v24, v28, v103 dst_sel:DWORD dst_unused:UNUSED_PAD src0_sel:DWORD src1_sel:WORD_1
	;; [unrolled: 1-line block ×4, first 2 shown]
	v_pack_b32_f16 v17, v77, v78
	v_fmac_f16_e32 v23, v21, v102
	v_fmac_f16_e32 v24, v22, v103
	v_fma_f16 v20, v26, v102, -v70
	v_fma_f16 v21, v28, v103, -v75
	v_lshrrev_b32_e32 v22, 16, v18
	ds_write2_b32 v193, v16, v17 offset1:10
	v_add_f16_e32 v16, v23, v24
	v_pack_b32_f16 v17, v25, v71
	v_add_f16_e32 v25, v20, v21
	v_add_f16_e32 v26, v22, v23
	v_sub_f16_e32 v23, v23, v24
	v_fmac_f16_e32 v22, -0.5, v16
	v_add_f16_e32 v16, v18, v20
	v_fma_f16 v18, -0.5, v25, v18
	v_sub_f16_e32 v20, v20, v21
	v_add_f16_e32 v24, v26, v24
	v_lshrrev_b32_e32 v26, 16, v27
	v_add_f16_e32 v16, v16, v21
	v_fmamk_f16 v21, v23, 0x3aee, v18
	v_fmamk_f16 v25, v20, 0xbaee, v22
	v_lshrrev_b32_e32 v28, 16, v29
	ds_write_b32 v193, v17 offset:80
	v_pack_b32_f16 v10, v16, v24
	v_mul_f16_sdwa v16, v26, v100 dst_sel:DWORD dst_unused:UNUSED_PAD src0_sel:DWORD src1_sel:WORD_1
	v_pack_b32_f16 v11, v21, v25
	v_mul_f16_sdwa v21, v28, v101 dst_sel:DWORD dst_unused:UNUSED_PAD src0_sel:DWORD src1_sel:WORD_1
	v_mul_f16_sdwa v24, v27, v100 dst_sel:DWORD dst_unused:UNUSED_PAD src0_sel:DWORD src1_sel:WORD_1
	;; [unrolled: 1-line block ×3, first 2 shown]
	v_fma_f16 v16, v27, v100, -v16
	v_fmac_f16_e32 v18, 0xbaee, v23
	v_fma_f16 v17, v29, v101, -v21
	v_fmac_f16_e32 v24, v26, v100
	v_fmac_f16_e32 v25, v28, v101
	v_lshrrev_b32_e32 v21, 16, v19
	v_fmac_f16_e32 v22, 0x3aee, v20
	v_add_f16_e32 v23, v16, v17
	v_add_f16_e32 v26, v19, v16
	;; [unrolled: 1-line block ×4, first 2 shown]
	v_sub_f16_e32 v16, v16, v17
	v_fmac_f16_e32 v19, -0.5, v23
	v_sub_f16_e32 v23, v24, v25
	v_fmac_f16_e32 v21, -0.5, v20
	v_add_f16_e32 v20, v27, v25
	v_add_f16_e32 v17, v26, v17
	v_pack_b32_f16 v18, v18, v22
	v_fmamk_f16 v22, v23, 0x3aee, v19
	v_fmamk_f16 v24, v16, 0xbaee, v21
	ds_write2_b32 v192, v10, v11 offset1:10
	ds_write_b32 v192, v18 offset:80
	v_pack_b32_f16 v10, v17, v20
	v_lshrrev_b32_e32 v17, 16, v32
	v_lshrrev_b32_e32 v18, 16, v34
	v_mad_u16 v25, v48, 30, v49
	v_pack_b32_f16 v11, v22, v24
	v_fmac_f16_e32 v19, 0xbaee, v23
	v_mul_f16_sdwa v20, v32, v98 dst_sel:DWORD dst_unused:UNUSED_PAD src0_sel:DWORD src1_sel:WORD_1
	v_mul_f16_sdwa v22, v34, v99 dst_sel:DWORD dst_unused:UNUSED_PAD src0_sel:DWORD src1_sel:WORD_1
	;; [unrolled: 1-line block ×4, first 2 shown]
	v_lshlrev_b32_sdwa v191, v55, v25 dst_sel:DWORD dst_unused:UNUSED_PAD src0_sel:DWORD src1_sel:WORD_0
	v_fmac_f16_e32 v21, 0x3aee, v16
	v_fmac_f16_e32 v20, v17, v98
	v_fmac_f16_e32 v22, v18, v99
	v_fma_f16 v16, v32, v98, -v23
	v_fma_f16 v17, v34, v99, -v24
	v_lshrrev_b32_e32 v18, 16, v30
	ds_write2_b32 v191, v10, v11 offset1:10
	v_pack_b32_f16 v10, v19, v21
	v_add_f16_e32 v11, v20, v22
	v_add_f16_e32 v19, v16, v17
	v_add_f16_e32 v21, v18, v20
	v_sub_f16_e32 v20, v20, v22
	v_add_f16_e32 v23, v30, v16
	v_fmac_f16_e32 v18, -0.5, v11
	v_fma_f16 v11, -0.5, v19, v30
	v_sub_f16_e32 v16, v16, v17
	v_add_f16_e32 v19, v21, v22
	v_add_f16_e32 v17, v23, v17
	ds_write_b32 v191, v10 offset:80
	v_fmamk_f16 v10, v20, 0x3aee, v11
	v_fmamk_f16 v21, v16, 0xbaee, v18
	v_lshrrev_b32_e32 v22, 16, v33
	v_lshrrev_b32_e32 v23, 16, v35
	v_pack_b32_f16 v17, v17, v19
	v_mul_f16_sdwa v25, v33, v96 dst_sel:DWORD dst_unused:UNUSED_PAD src0_sel:DWORD src1_sel:WORD_1
	v_pack_b32_f16 v10, v10, v21
	v_mul_f16_sdwa v19, v22, v96 dst_sel:DWORD dst_unused:UNUSED_PAD src0_sel:DWORD src1_sel:WORD_1
	v_mul_f16_sdwa v21, v23, v97 dst_sel:DWORD dst_unused:UNUSED_PAD src0_sel:DWORD src1_sel:WORD_1
	;; [unrolled: 1-line block ×3, first 2 shown]
	v_mad_u16 v24, v50, 30, v51
	v_fmac_f16_e32 v25, v22, v96
	v_fma_f16 v19, v33, v96, -v19
	v_fma_f16 v21, v35, v97, -v21
	v_fmac_f16_e32 v26, v23, v97
	v_fmac_f16_e32 v11, 0xbaee, v20
	v_lshrrev_b32_e32 v20, 16, v31
	v_lshlrev_b32_sdwa v195, v55, v24 dst_sel:DWORD dst_unused:UNUSED_PAD src0_sel:DWORD src1_sel:WORD_0
	v_add_f16_e32 v22, v19, v21
	v_fmac_f16_e32 v18, 0x3aee, v16
	v_add_f16_e32 v16, v25, v26
	v_add_f16_e32 v23, v31, v19
	;; [unrolled: 1-line block ×3, first 2 shown]
	v_fmac_f16_e32 v31, -0.5, v22
	v_sub_f16_e32 v22, v25, v26
	v_fmac_f16_e32 v20, -0.5, v16
	v_sub_f16_e32 v16, v19, v21
	v_add_f16_e32 v19, v24, v26
	v_pack_b32_f16 v11, v11, v18
	v_add_f16_e32 v18, v23, v21
	v_fmamk_f16 v21, v22, 0x3aee, v31
	v_fmamk_f16 v23, v16, 0xbaee, v20
	ds_write2_b32 v195, v17, v10 offset1:10
	ds_write_b32 v195, v11 offset:80
	v_lshrrev_b32_e32 v17, 16, v38
	v_pack_b32_f16 v10, v18, v19
	v_lshrrev_b32_e32 v18, 16, v40
	v_pack_b32_f16 v11, v21, v23
	v_fmac_f16_e32 v31, 0xbaee, v22
	v_mul_f16_sdwa v19, v38, v90 dst_sel:DWORD dst_unused:UNUSED_PAD src0_sel:DWORD src1_sel:WORD_1
	v_fmac_f16_e32 v20, 0x3aee, v16
	v_mul_f16_sdwa v16, v40, v91 dst_sel:DWORD dst_unused:UNUSED_PAD src0_sel:DWORD src1_sel:WORD_1
	v_mul_f16_sdwa v21, v17, v90 dst_sel:DWORD dst_unused:UNUSED_PAD src0_sel:DWORD src1_sel:WORD_1
	;; [unrolled: 1-line block ×3, first 2 shown]
	v_mad_u16 v24, v52, 30, v53
	v_fmac_f16_e32 v19, v17, v90
	v_lshrrev_b32_e32 v17, 16, v36
	v_fmac_f16_e32 v16, v18, v91
	v_fma_f16 v18, v38, v90, -v21
	v_fma_f16 v21, v40, v91, -v22
	v_lshlrev_b32_sdwa v190, v55, v24 dst_sel:DWORD dst_unused:UNUSED_PAD src0_sel:DWORD src1_sel:WORD_0
	v_add_f16_e32 v22, v17, v19
	v_add_f16_e32 v23, v19, v16
	;; [unrolled: 1-line block ×4, first 2 shown]
	v_sub_f16_e32 v19, v19, v16
	v_add_f16_e32 v16, v22, v16
	v_fmac_f16_e32 v17, -0.5, v23
	v_add_f16_e32 v22, v24, v21
	v_fma_f16 v23, -0.5, v25, v36
	v_lshrrev_b32_e32 v24, 16, v39
	v_lshrrev_b32_e32 v25, 16, v41
	v_pack_b32_f16 v20, v31, v20
	v_mul_f16_sdwa v30, v39, v94 dst_sel:DWORD dst_unused:UNUSED_PAD src0_sel:DWORD src1_sel:WORD_1
	v_mul_f16_sdwa v31, v41, v95 dst_sel:DWORD dst_unused:UNUSED_PAD src0_sel:DWORD src1_sel:WORD_1
	;; [unrolled: 1-line block ×4, first 2 shown]
	v_sub_f16_e32 v18, v18, v21
	v_fmac_f16_e32 v30, v24, v94
	v_fmac_f16_e32 v31, v25, v95
	v_fma_f16 v27, v39, v94, -v27
	v_fma_f16 v28, v41, v95, -v28
	v_fmamk_f16 v26, v19, 0x3aee, v23
	v_fmamk_f16 v29, v18, 0xbaee, v17
	v_lshrrev_b32_e32 v25, 16, v37
	v_fmac_f16_e32 v23, 0xbaee, v19
	v_add_f16_e32 v24, v27, v28
	v_add_f16_e32 v19, v30, v31
	v_pack_b32_f16 v16, v22, v16
	v_pack_b32_f16 v22, v26, v29
	v_add_f16_e32 v26, v37, v27
	v_fmac_f16_e32 v37, -0.5, v24
	v_add_f16_e32 v24, v25, v30
	v_sub_f16_e32 v29, v30, v31
	v_fmac_f16_e32 v25, -0.5, v19
	v_sub_f16_e32 v19, v27, v28
	v_mad_u16 v21, v57, 30, v60
	v_fmac_f16_e32 v17, 0x3aee, v18
	v_add_f16_e32 v18, v24, v31
	v_add_f16_e32 v24, v26, v28
	v_fmamk_f16 v26, v29, 0x3aee, v37
	v_fmamk_f16 v27, v19, 0xbaee, v25
	v_mad_u16 v28, v61, 30, v62
	v_lshlrev_b32_sdwa v197, v55, v21 dst_sel:DWORD dst_unused:UNUSED_PAD src0_sel:DWORD src1_sel:WORD_0
	v_pack_b32_f16 v17, v23, v17
	v_pack_b32_f16 v18, v24, v18
	;; [unrolled: 1-line block ×3, first 2 shown]
	v_lshlrev_b32_sdwa v188, v55, v28 dst_sel:DWORD dst_unused:UNUSED_PAD src0_sel:DWORD src1_sel:WORD_0
	ds_write2_b32 v190, v10, v11 offset1:10
	ds_write_b32 v190, v20 offset:80
	ds_write2_b32 v197, v16, v22 offset1:10
	ds_write_b32 v197, v17 offset:80
	ds_write2_b32 v188, v18, v21 offset1:10
	v_lshrrev_b32_e32 v10, 16, v44
	v_mul_f16_sdwa v11, v44, v92 dst_sel:DWORD dst_unused:UNUSED_PAD src0_sel:DWORD src1_sel:WORD_1
	v_lshrrev_b32_e32 v16, 16, v46
	v_mul_f16_sdwa v17, v46, v93 dst_sel:DWORD dst_unused:UNUSED_PAD src0_sel:DWORD src1_sel:WORD_1
	v_lshrrev_b32_e32 v18, 16, v42
	v_fmac_f16_e32 v37, 0xbaee, v29
	v_fmac_f16_e32 v11, v10, v92
	v_mul_f16_sdwa v10, v10, v92 dst_sel:DWORD dst_unused:UNUSED_PAD src0_sel:DWORD src1_sel:WORD_1
	v_fmac_f16_e32 v17, v16, v93
	v_mul_f16_sdwa v16, v16, v93 dst_sel:DWORD dst_unused:UNUSED_PAD src0_sel:DWORD src1_sel:WORD_1
	v_fmac_f16_e32 v25, 0x3aee, v19
	v_add_f16_e32 v20, v18, v11
	v_fma_f16 v10, v44, v92, -v10
	v_add_f16_e32 v21, v11, v17
	v_fma_f16 v16, v46, v93, -v16
	v_sub_f16_e32 v11, v11, v17
	v_add_f16_e32 v17, v20, v17
	v_add_f16_e32 v22, v42, v10
	v_fmac_f16_e32 v18, -0.5, v21
	v_add_f16_e32 v20, v10, v16
	v_lshrrev_b32_e32 v21, 16, v45
	v_sub_f16_e32 v10, v10, v16
	v_add_f16_e32 v22, v22, v16
	v_lshrrev_b32_e32 v16, 16, v47
	v_fma_f16 v20, -0.5, v20, v42
	v_mul_f16_sdwa v23, v21, v88 dst_sel:DWORD dst_unused:UNUSED_PAD src0_sel:DWORD src1_sel:WORD_1
	v_mul_f16_sdwa v26, v45, v88 dst_sel:DWORD dst_unused:UNUSED_PAD src0_sel:DWORD src1_sel:WORD_1
	;; [unrolled: 1-line block ×4, first 2 shown]
	v_pack_b32_f16 v19, v37, v25
	v_fmamk_f16 v25, v11, 0x3aee, v20
	v_fma_f16 v23, v45, v88, -v23
	v_fmamk_f16 v28, v10, 0xbaee, v18
	v_fma_f16 v24, v47, v89, -v24
	v_fmac_f16_e32 v26, v21, v88
	v_fmac_f16_e32 v27, v16, v89
	v_pack_b32_f16 v17, v22, v17
	v_pack_b32_f16 v21, v25, v28
	v_add_f16_e32 v16, v23, v24
	v_lshrrev_b32_e32 v22, 16, v43
	v_add_f16_e32 v28, v26, v27
	v_add_f16_e32 v25, v43, v23
	ds_write_b32 v188, v19 offset:80
	v_fmac_f16_e32 v43, -0.5, v16
	v_sub_f16_e32 v16, v26, v27
	v_add_f16_e32 v26, v22, v26
	v_fmac_f16_e32 v22, -0.5, v28
	v_lshrrev_b16 v28, 12, v6
	v_mad_u16 v19, v63, 30, v65
	v_sub_f16_e32 v23, v23, v24
	v_fmac_f16_e32 v18, 0x3aee, v10
	v_fmac_f16_e32 v20, 0xbaee, v11
	v_mul_lo_u16 v10, v28, 30
	v_lshlrev_b32_sdwa v194, v55, v19 dst_sel:DWORD dst_unused:UNUSED_PAD src0_sel:DWORD src1_sel:WORD_0
	v_fmamk_f16 v19, v16, 0x3aee, v43
	v_fmamk_f16 v6, v23, 0xbaee, v22
	v_fmac_f16_e32 v43, 0xbaee, v16
	v_sub_nc_u16 v10, v54, v10
	v_add_f16_e32 v11, v25, v24
	v_add_f16_e32 v16, v26, v27
	v_fmac_f16_e32 v22, 0x3aee, v23
	v_mad_u16 v23, v68, 30, v69
	v_pack_b32_f16 v6, v19, v6
	v_and_b32_e32 v19, 0xff, v10
	v_pack_b32_f16 v18, v20, v18
	v_pack_b32_f16 v11, v11, v16
	v_lshlrev_b32_sdwa v196, v55, v23 dst_sel:DWORD dst_unused:UNUSED_PAD src0_sel:DWORD src1_sel:WORD_0
	v_pack_b32_f16 v10, v43, v22
	ds_write2_b32 v194, v17, v21 offset1:10
	ds_write_b32 v194, v18 offset:80
	ds_write2_b32 v196, v11, v6 offset1:10
	v_lshlrev_b32_e32 v6, 3, v19
	ds_write_b32 v196, v10 offset:80
	s_waitcnt lgkmcnt(0)
	s_barrier
	buffer_gl0_inv
	global_load_dwordx2 v[86:87], v6, s[2:3] offset:80
	v_mul_lo_u16 v6, 0x89, v7
	v_mov_b32_e32 v10, 0x8889
	v_lshrrev_b16 v42, 12, v6
	v_mul_u32_u24_sdwa v11, v59, v10 dst_sel:DWORD dst_unused:UNUSED_PAD src0_sel:WORD_0 src1_sel:DWORD
	v_mul_lo_u16 v6, v42, 30
	v_lshrrev_b32_e32 v48, 20, v11
	v_mul_u32_u24_sdwa v11, v58, v10 dst_sel:DWORD dst_unused:UNUSED_PAD src0_sel:WORD_0 src1_sel:DWORD
	v_mul_u32_u24_sdwa v42, v42, v110 dst_sel:DWORD dst_unused:UNUSED_PAD src0_sel:WORD_0 src1_sel:DWORD
	v_sub_nc_u16 v6, v5, v6
	v_lshrrev_b32_e32 v50, 20, v11
	v_mul_u32_u24_sdwa v11, v67, v10 dst_sel:DWORD dst_unused:UNUSED_PAD src0_sel:WORD_0 src1_sel:DWORD
	v_and_b32_e32 v43, 0xff, v6
	v_lshrrev_b32_e32 v57, 20, v11
	v_mul_u32_u24_sdwa v11, v66, v10 dst_sel:DWORD dst_unused:UNUSED_PAD src0_sel:WORD_0 src1_sel:DWORD
	v_lshlrev_b32_e32 v6, 3, v43
	v_add_lshl_u32 v183, v42, v43, 2
	v_lshrrev_b32_e32 v68, 20, v11
	global_load_dwordx2 v[84:85], v6, s[2:3] offset:80
	v_mul_lo_u16 v6, 0x89, v4
	v_mul_u32_u24_sdwa v11, v72, v10 dst_sel:DWORD dst_unused:UNUSED_PAD src0_sel:WORD_0 src1_sel:DWORD
	v_mul_lo_u16 v4, 0xb7, v4
	v_lshrrev_b16 v44, 12, v6
	v_lshrrev_b32_e32 v73, 20, v11
	v_lshrrev_b16 v4, 14, v4
	v_mul_lo_u16 v6, v44, 30
	v_sub_nc_u16 v6, v8, v6
	v_and_b32_e32 v45, 0xff, v6
	v_mul_u32_u24_sdwa v6, v56, v10 dst_sel:DWORD dst_unused:UNUSED_PAD src0_sel:WORD_0 src1_sel:DWORD
	v_mul_u32_u24_sdwa v10, v74, v10 dst_sel:DWORD dst_unused:UNUSED_PAD src0_sel:WORD_0 src1_sel:DWORD
	v_lshlrev_b32_e32 v7, 3, v45
	v_lshrrev_b32_e32 v46, 20, v6
	v_lshrrev_b32_e32 v106, 20, v10
	global_load_dwordx2 v[82:83], v7, s[2:3] offset:80
	v_mul_lo_u16 v6, v46, 30
	v_sub_nc_u16 v47, v56, v6
	v_lshlrev_b16 v6, 3, v47
	v_and_b32_e32 v6, 0xffff, v6
	v_add_co_u32 v6, s0, s2, v6
	v_add_co_ci_u32_e64 v7, null, s3, 0, s0
	global_load_dwordx2 v[80:81], v[6:7], off offset:80
	v_mul_lo_u16 v6, v48, 30
	v_sub_nc_u16 v49, v59, v6
	v_lshlrev_b16 v6, 3, v49
	v_and_b32_e32 v6, 0xffff, v6
	v_add_co_u32 v6, s0, s2, v6
	v_add_co_ci_u32_e64 v7, null, s3, 0, s0
	global_load_dwordx2 v[76:77], v[6:7], off offset:80
	;; [unrolled: 7-line block ×6, first 2 shown]
	v_mul_lo_u16 v6, v106, 30
	ds_read2_b32 v[10:11], v140 offset0:42 offset1:123
	ds_read2_b32 v[16:17], v152 offset0:84 offset1:165
	v_sub_nc_u16 v107, v74, v6
	v_lshlrev_b16 v6, 3, v107
	v_and_b32_e32 v6, 0xffff, v6
	v_add_co_u32 v6, s0, s2, v6
	v_add_co_ci_u32_e64 v7, null, s3, 0, s0
	s_waitcnt lgkmcnt(1)
	v_lshrrev_b32_e32 v18, 16, v10
	s_waitcnt lgkmcnt(0)
	v_lshrrev_b32_e32 v20, 16, v16
	v_lshrrev_b32_e32 v112, 16, v11
	global_load_dwordx2 v[52:53], v[6:7], off offset:80
	ds_read2_b32 v[6:7], v148 offset1:81
	v_lshrrev_b32_e32 v113, 16, v17
	s_waitcnt lgkmcnt(0)
	v_lshrrev_b32_e32 v108, 16, v6
	s_waitcnt vmcnt(9)
	v_mul_f16_sdwa v21, v10, v86 dst_sel:DWORD dst_unused:UNUSED_PAD src0_sel:DWORD src1_sel:WORD_1
	v_mul_f16_sdwa v22, v16, v87 dst_sel:DWORD dst_unused:UNUSED_PAD src0_sel:DWORD src1_sel:WORD_1
	;; [unrolled: 1-line block ×4, first 2 shown]
	v_fmac_f16_e32 v21, v18, v86
	v_fmac_f16_e32 v22, v20, v87
	v_fma_f16 v10, v10, v86, -v23
	v_fma_f16 v16, v16, v87, -v24
	v_add_f16_e32 v20, v108, v21
	v_add_f16_e32 v18, v21, v22
	v_sub_f16_e32 v109, v21, v22
	v_add_f16_e32 v23, v10, v16
	v_add_f16_e32 v20, v20, v22
	v_fmac_f16_e32 v108, -0.5, v18
	v_add_f16_e32 v18, v6, v10
	v_fma_f16 v6, -0.5, v23, v6
	v_sub_f16_e32 v10, v10, v16
	v_add_f16_e32 v16, v18, v16
	v_mul_u32_u24_sdwa v18, v28, v110 dst_sel:DWORD dst_unused:UNUSED_PAD src0_sel:WORD_0 src1_sel:DWORD
	v_fmamk_f16 v21, v109, 0x3aee, v6
	v_fmamk_f16 v22, v10, 0xbaee, v108
	v_fmac_f16_e32 v6, 0xbaee, v109
	v_lshrrev_b32_e32 v109, 16, v7
	v_add_lshl_u32 v178, v18, v19, 2
	v_pack_b32_f16 v16, v16, v20
	v_pack_b32_f16 v111, v21, v22
	s_waitcnt vmcnt(8)
	v_mul_f16_sdwa v160, v112, v84 dst_sel:DWORD dst_unused:UNUSED_PAD src0_sel:DWORD src1_sel:WORD_1
	v_mul_f16_sdwa v162, v11, v84 dst_sel:DWORD dst_unused:UNUSED_PAD src0_sel:DWORD src1_sel:WORD_1
	;; [unrolled: 1-line block ×4, first 2 shown]
	ds_read2_b32 v[18:19], v148 offset0:162 offset1:243
	ds_read2_b32 v[20:21], v155 offset0:76 offset1:157
	;; [unrolled: 1-line block ×11, first 2 shown]
	v_fma_f16 v11, v11, v84, -v160
	v_fmac_f16_e32 v162, v112, v84
	v_fmac_f16_e32 v163, v113, v85
	v_fma_f16 v17, v17, v85, -v161
	v_fmac_f16_e32 v108, 0x3aee, v10
	v_add_f16_e32 v113, v7, v11
	v_add_f16_e32 v160, v109, v162
	;; [unrolled: 1-line block ×4, first 2 shown]
	v_pack_b32_f16 v6, v6, v108
	ds_read2_b32 v[40:41], v131 offset0:92 offset1:173
	s_waitcnt vmcnt(0) lgkmcnt(0)
	v_fmac_f16_e32 v109, -0.5, v10
	v_sub_f16_e32 v10, v11, v17
	v_add_f16_e32 v11, v160, v163
	v_add_f16_e32 v17, v113, v17
	s_barrier
	buffer_gl0_inv
	v_fmac_f16_e32 v7, -0.5, v112
	v_sub_f16_e32 v112, v162, v163
	v_pack_b32_f16 v11, v17, v11
	ds_write_b32 v178, v6 offset:240
	v_lshrrev_b32_e32 v6, 16, v20
	v_lshrrev_b32_e32 v17, 16, v22
	v_fmamk_f16 v113, v112, 0x3aee, v7
	v_fmamk_f16 v160, v10, 0xbaee, v109
	ds_write2_b32 v178, v16, v111 offset1:30
	v_mul_f16_sdwa v42, v20, v82 dst_sel:DWORD dst_unused:UNUSED_PAD src0_sel:DWORD src1_sel:WORD_1
	v_mul_f16_sdwa v43, v22, v83 dst_sel:DWORD dst_unused:UNUSED_PAD src0_sel:DWORD src1_sel:WORD_1
	;; [unrolled: 1-line block ×4, first 2 shown]
	v_pack_b32_f16 v16, v113, v160
	v_fmac_f16_e32 v109, 0x3aee, v10
	v_fmac_f16_e32 v42, v6, v82
	v_fmac_f16_e32 v43, v17, v83
	v_fma_f16 v6, v20, v82, -v108
	v_fma_f16 v10, v22, v83, -v111
	v_lshrrev_b32_e32 v17, 16, v18
	ds_write2_b32 v183, v11, v16 offset1:30
	v_add_f16_e32 v11, v42, v43
	v_sub_f16_e32 v22, v42, v43
	v_add_f16_e32 v16, v6, v10
	v_add_f16_e32 v20, v17, v42
	v_fmac_f16_e32 v7, 0xbaee, v112
	v_fmac_f16_e32 v17, -0.5, v11
	v_add_f16_e32 v11, v18, v6
	v_fma_f16 v16, -0.5, v16, v18
	v_sub_f16_e32 v6, v6, v10
	v_add_f16_e32 v18, v20, v43
	v_mul_u32_u24_sdwa v20, v44, v110 dst_sel:DWORD dst_unused:UNUSED_PAD src0_sel:WORD_0 src1_sel:DWORD
	v_add_f16_e32 v10, v11, v10
	v_fmamk_f16 v11, v22, 0x3aee, v16
	v_fmamk_f16 v42, v6, 0xbaee, v17
	v_lshrrev_b32_e32 v43, 16, v21
	v_lshrrev_b32_e32 v44, 16, v23
	v_pack_b32_f16 v7, v7, v109
	v_add_lshl_u32 v182, v20, v45, 2
	v_pack_b32_f16 v10, v10, v18
	v_pack_b32_f16 v11, v11, v42
	v_mul_f16_sdwa v18, v43, v80 dst_sel:DWORD dst_unused:UNUSED_PAD src0_sel:DWORD src1_sel:WORD_1
	v_mul_f16_sdwa v20, v44, v81 dst_sel:DWORD dst_unused:UNUSED_PAD src0_sel:DWORD src1_sel:WORD_1
	;; [unrolled: 1-line block ×4, first 2 shown]
	ds_write_b32 v183, v7 offset:240
	v_fma_f16 v7, v21, v80, -v18
	v_fma_f16 v18, v23, v81, -v20
	v_fmac_f16_e32 v42, v43, v80
	v_fmac_f16_e32 v45, v44, v81
	v_lshrrev_b32_e32 v20, 16, v19
	v_fmac_f16_e32 v17, 0x3aee, v6
	v_add_f16_e32 v21, v7, v18
	v_fmac_f16_e32 v16, 0xbaee, v22
	v_add_f16_e32 v6, v42, v45
	v_add_f16_e32 v22, v19, v7
	;; [unrolled: 1-line block ×3, first 2 shown]
	v_fmac_f16_e32 v19, -0.5, v21
	v_sub_f16_e32 v21, v42, v45
	v_fmac_f16_e32 v20, -0.5, v6
	v_sub_f16_e32 v6, v7, v18
	v_pack_b32_f16 v16, v16, v17
	v_add_f16_e32 v7, v23, v45
	v_add_f16_e32 v17, v22, v18
	v_fmamk_f16 v18, v21, 0x3aee, v19
	v_fmamk_f16 v22, v6, 0xbaee, v20
	ds_write2_b32 v182, v10, v11 offset1:30
	ds_write_b32 v182, v16 offset:240
	v_lshrrev_b32_e32 v11, 16, v26
	v_lshrrev_b32_e32 v16, 16, v28
	v_mad_u16 v23, 0x5a, v46, v47
	v_pack_b32_f16 v7, v17, v7
	v_pack_b32_f16 v10, v18, v22
	v_fmac_f16_e32 v19, 0xbaee, v21
	v_mul_f16_sdwa v17, v26, v76 dst_sel:DWORD dst_unused:UNUSED_PAD src0_sel:DWORD src1_sel:WORD_1
	v_mul_f16_sdwa v18, v28, v77 dst_sel:DWORD dst_unused:UNUSED_PAD src0_sel:DWORD src1_sel:WORD_1
	;; [unrolled: 1-line block ×4, first 2 shown]
	v_lshlrev_b32_sdwa v181, v55, v23 dst_sel:DWORD dst_unused:UNUSED_PAD src0_sel:DWORD src1_sel:WORD_0
	v_fmac_f16_e32 v20, 0x3aee, v6
	v_fmac_f16_e32 v17, v11, v76
	;; [unrolled: 1-line block ×3, first 2 shown]
	v_fma_f16 v6, v26, v76, -v21
	v_fma_f16 v11, v28, v77, -v22
	v_lshrrev_b32_e32 v16, 16, v24
	ds_write2_b32 v181, v7, v10 offset1:30
	v_pack_b32_f16 v7, v19, v20
	v_add_f16_e32 v10, v17, v18
	v_add_f16_e32 v19, v6, v11
	;; [unrolled: 1-line block ×3, first 2 shown]
	v_sub_f16_e32 v17, v17, v18
	v_add_f16_e32 v21, v24, v6
	v_fmac_f16_e32 v16, -0.5, v10
	v_fma_f16 v10, -0.5, v19, v24
	v_sub_f16_e32 v6, v6, v11
	v_add_f16_e32 v18, v20, v18
	v_add_f16_e32 v11, v21, v11
	ds_write_b32 v181, v7 offset:240
	v_fmamk_f16 v7, v17, 0x3aee, v10
	v_fmamk_f16 v19, v6, 0xbaee, v16
	v_lshrrev_b32_e32 v20, 16, v27
	v_lshrrev_b32_e32 v21, 16, v29
	v_pack_b32_f16 v11, v11, v18
	v_mul_f16_sdwa v23, v27, v78 dst_sel:DWORD dst_unused:UNUSED_PAD src0_sel:DWORD src1_sel:WORD_1
	v_pack_b32_f16 v7, v7, v19
	v_mul_f16_sdwa v18, v20, v78 dst_sel:DWORD dst_unused:UNUSED_PAD src0_sel:DWORD src1_sel:WORD_1
	v_mul_f16_sdwa v19, v21, v79 dst_sel:DWORD dst_unused:UNUSED_PAD src0_sel:DWORD src1_sel:WORD_1
	v_mul_f16_sdwa v24, v29, v79 dst_sel:DWORD dst_unused:UNUSED_PAD src0_sel:DWORD src1_sel:WORD_1
	v_mad_u16 v22, 0x5a, v48, v49
	v_fmac_f16_e32 v23, v20, v78
	v_fma_f16 v18, v27, v78, -v18
	v_fma_f16 v19, v29, v79, -v19
	v_fmac_f16_e32 v24, v21, v79
	v_fmac_f16_e32 v10, 0xbaee, v17
	v_lshrrev_b32_e32 v17, 16, v25
	v_lshlrev_b32_sdwa v185, v55, v22 dst_sel:DWORD dst_unused:UNUSED_PAD src0_sel:DWORD src1_sel:WORD_0
	v_add_f16_e32 v20, v18, v19
	v_fmac_f16_e32 v16, 0x3aee, v6
	v_add_f16_e32 v6, v23, v24
	v_add_f16_e32 v21, v25, v18
	v_add_f16_e32 v22, v17, v23
	v_fmac_f16_e32 v25, -0.5, v20
	v_sub_f16_e32 v20, v23, v24
	v_fmac_f16_e32 v17, -0.5, v6
	v_sub_f16_e32 v6, v18, v19
	v_add_f16_e32 v18, v22, v24
	v_pack_b32_f16 v10, v10, v16
	v_add_f16_e32 v16, v21, v19
	v_fmamk_f16 v19, v20, 0x3aee, v25
	v_fmamk_f16 v21, v6, 0xbaee, v17
	ds_write2_b32 v185, v11, v7 offset1:30
	ds_write_b32 v185, v10 offset:240
	v_lshrrev_b32_e32 v11, 16, v32
	v_pack_b32_f16 v7, v16, v18
	v_lshrrev_b32_e32 v16, 16, v34
	v_mad_u16 v22, 0x5a, v50, v51
	v_pack_b32_f16 v10, v19, v21
	v_fmac_f16_e32 v25, 0xbaee, v20
	v_mul_f16_sdwa v18, v32, v70 dst_sel:DWORD dst_unused:UNUSED_PAD src0_sel:DWORD src1_sel:WORD_1
	v_mul_f16_sdwa v19, v34, v71 dst_sel:DWORD dst_unused:UNUSED_PAD src0_sel:DWORD src1_sel:WORD_1
	;; [unrolled: 1-line block ×4, first 2 shown]
	v_lshlrev_b32_sdwa v179, v55, v22 dst_sel:DWORD dst_unused:UNUSED_PAD src0_sel:DWORD src1_sel:WORD_0
	v_fmac_f16_e32 v17, 0x3aee, v6
	v_fmac_f16_e32 v18, v11, v70
	;; [unrolled: 1-line block ×3, first 2 shown]
	v_fma_f16 v6, v32, v70, -v20
	v_fma_f16 v11, v34, v71, -v21
	v_lshrrev_b32_e32 v16, 16, v30
	ds_write2_b32 v179, v7, v10 offset1:30
	v_pack_b32_f16 v7, v25, v17
	v_add_f16_e32 v10, v18, v19
	v_add_f16_e32 v17, v6, v11
	;; [unrolled: 1-line block ×3, first 2 shown]
	v_sub_f16_e32 v18, v18, v19
	v_add_f16_e32 v21, v30, v6
	v_fmac_f16_e32 v16, -0.5, v10
	v_fma_f16 v10, -0.5, v17, v30
	v_sub_f16_e32 v6, v6, v11
	v_add_f16_e32 v17, v20, v19
	v_add_f16_e32 v11, v21, v11
	ds_write_b32 v179, v7 offset:240
	v_fmamk_f16 v7, v18, 0x3aee, v10
	v_fmamk_f16 v19, v6, 0xbaee, v16
	v_lshrrev_b32_e32 v20, 16, v33
	v_lshrrev_b32_e32 v21, 16, v35
	v_pack_b32_f16 v11, v11, v17
	v_mul_f16_sdwa v23, v33, v60 dst_sel:DWORD dst_unused:UNUSED_PAD src0_sel:DWORD src1_sel:WORD_1
	v_pack_b32_f16 v7, v7, v19
	v_mul_f16_sdwa v17, v20, v60 dst_sel:DWORD dst_unused:UNUSED_PAD src0_sel:DWORD src1_sel:WORD_1
	v_mul_f16_sdwa v19, v21, v61 dst_sel:DWORD dst_unused:UNUSED_PAD src0_sel:DWORD src1_sel:WORD_1
	;; [unrolled: 1-line block ×3, first 2 shown]
	v_mad_u16 v22, 0x5a, v57, v65
	v_fmac_f16_e32 v23, v20, v60
	v_fma_f16 v17, v33, v60, -v17
	v_fma_f16 v19, v35, v61, -v19
	v_fmac_f16_e32 v24, v21, v61
	v_fmac_f16_e32 v10, 0xbaee, v18
	v_lshrrev_b32_e32 v18, 16, v31
	v_lshlrev_b32_sdwa v184, v55, v22 dst_sel:DWORD dst_unused:UNUSED_PAD src0_sel:DWORD src1_sel:WORD_0
	v_add_f16_e32 v20, v17, v19
	v_fmac_f16_e32 v16, 0x3aee, v6
	v_add_f16_e32 v6, v23, v24
	v_add_f16_e32 v21, v31, v17
	;; [unrolled: 1-line block ×3, first 2 shown]
	v_fmac_f16_e32 v31, -0.5, v20
	v_sub_f16_e32 v20, v23, v24
	v_fmac_f16_e32 v18, -0.5, v6
	v_sub_f16_e32 v6, v17, v19
	v_add_f16_e32 v17, v22, v24
	v_pack_b32_f16 v10, v10, v16
	v_add_f16_e32 v16, v21, v19
	v_fmamk_f16 v19, v20, 0x3aee, v31
	v_fmamk_f16 v21, v6, 0xbaee, v18
	ds_write2_b32 v184, v11, v7 offset1:30
	ds_write_b32 v184, v10 offset:240
	v_mad_u16 v7, 0x5a, v68, v69
	v_pack_b32_f16 v10, v16, v17
	v_lshrrev_b32_e32 v16, 16, v38
	v_lshrrev_b32_e32 v17, 16, v40
	v_pack_b32_f16 v11, v19, v21
	v_lshlrev_b32_sdwa v177, v55, v7 dst_sel:DWORD dst_unused:UNUSED_PAD src0_sel:DWORD src1_sel:WORD_0
	v_mul_f16_sdwa v7, v38, v62 dst_sel:DWORD dst_unused:UNUSED_PAD src0_sel:DWORD src1_sel:WORD_1
	v_mul_f16_sdwa v19, v40, v63 dst_sel:DWORD dst_unused:UNUSED_PAD src0_sel:DWORD src1_sel:WORD_1
	v_mul_f16_sdwa v21, v16, v62 dst_sel:DWORD dst_unused:UNUSED_PAD src0_sel:DWORD src1_sel:WORD_1
	v_mul_f16_sdwa v22, v17, v63 dst_sel:DWORD dst_unused:UNUSED_PAD src0_sel:DWORD src1_sel:WORD_1
	ds_write2_b32 v177, v10, v11 offset1:30
	v_fmac_f16_e32 v7, v16, v62
	v_fmac_f16_e32 v19, v17, v63
	v_fma_f16 v10, v38, v62, -v21
	v_fma_f16 v11, v40, v63, -v22
	v_lshrrev_b32_e32 v16, 16, v36
	v_fmac_f16_e32 v18, 0x3aee, v6
	v_add_f16_e32 v17, v7, v19
	v_fmac_f16_e32 v31, 0xbaee, v20
	v_add_f16_e32 v6, v10, v11
	v_add_f16_e32 v20, v16, v7
	v_sub_f16_e32 v7, v7, v19
	v_fmac_f16_e32 v16, -0.5, v17
	v_add_f16_e32 v17, v36, v10
	v_fma_f16 v6, -0.5, v6, v36
	v_sub_f16_e32 v10, v10, v11
	v_add_f16_e32 v19, v20, v19
	v_lshrrev_b32_e32 v21, 16, v39
	v_add_f16_e32 v11, v17, v11
	v_fmamk_f16 v17, v7, 0x3aee, v6
	v_fmamk_f16 v20, v10, 0xbaee, v16
	v_lshrrev_b32_e32 v22, 16, v41
	v_mul_f16_sdwa v24, v39, v52 dst_sel:DWORD dst_unused:UNUSED_PAD src0_sel:DWORD src1_sel:WORD_1
	v_pack_b32_f16 v11, v11, v19
	v_mul_f16_sdwa v19, v21, v52 dst_sel:DWORD dst_unused:UNUSED_PAD src0_sel:DWORD src1_sel:WORD_1
	v_pack_b32_f16 v17, v17, v20
	v_mul_f16_sdwa v20, v22, v53 dst_sel:DWORD dst_unused:UNUSED_PAD src0_sel:DWORD src1_sel:WORD_1
	v_mul_f16_sdwa v25, v41, v53 dst_sel:DWORD dst_unused:UNUSED_PAD src0_sel:DWORD src1_sel:WORD_1
	v_fmac_f16_e32 v24, v21, v52
	v_fma_f16 v19, v39, v52, -v19
	v_mad_u16 v23, 0x5a, v73, v75
	v_fma_f16 v20, v41, v53, -v20
	v_fmac_f16_e32 v25, v22, v53
	v_fmac_f16_e32 v6, 0xbaee, v7
	v_lshrrev_b32_e32 v7, 16, v37
	v_fmac_f16_e32 v16, 0x3aee, v10
	v_add_f16_e32 v21, v19, v20
	v_add_f16_e32 v10, v24, v25
	v_lshlrev_b32_sdwa v180, v55, v23 dst_sel:DWORD dst_unused:UNUSED_PAD src0_sel:DWORD src1_sel:WORD_0
	v_add_f16_e32 v22, v37, v19
	v_add_f16_e32 v23, v7, v24
	v_fmac_f16_e32 v37, -0.5, v21
	v_sub_f16_e32 v21, v24, v25
	v_fmac_f16_e32 v7, -0.5, v10
	v_sub_f16_e32 v10, v19, v20
	v_add_f16_e32 v19, v23, v25
	v_pack_b32_f16 v6, v6, v16
	v_add_f16_e32 v16, v22, v20
	v_fmamk_f16 v20, v21, 0x3aee, v37
	v_fmamk_f16 v22, v10, 0xbaee, v7
	v_mad_u16 v23, 0x5a, v106, v107
	v_fmac_f16_e32 v37, 0xbaee, v21
	v_fmac_f16_e32 v7, 0x3aee, v10
	v_pack_b32_f16 v18, v31, v18
	v_pack_b32_f16 v10, v16, v19
	;; [unrolled: 1-line block ×3, first 2 shown]
	v_lshlrev_b32_sdwa v186, v55, v23 dst_sel:DWORD dst_unused:UNUSED_PAD src0_sel:DWORD src1_sel:WORD_0
	v_pack_b32_f16 v7, v37, v7
	ds_write_b32 v177, v18 offset:240
	ds_write2_b32 v180, v11, v17 offset1:30
	ds_write_b32 v180, v6 offset:240
	ds_write2_b32 v186, v10, v16 offset1:30
	v_add_co_u32 v6, s0, v145, -9
	ds_write_b32 v186, v7 offset:240
	v_add_co_ci_u32_e64 v7, null, 0, -1, s0
	v_cndmask_b32_e32 v6, v6, v5, vcc_lo
	v_lshlrev_b32_e32 v16, 3, v145
	s_waitcnt lgkmcnt(0)
	v_cndmask_b32_e32 v7, v7, v64, vcc_lo
	s_barrier
	buffer_gl0_inv
	global_load_dwordx2 v[50:51], v16, s[2:3] offset:320
	v_mov_b32_e32 v17, 0x2d83
	v_lshlrev_b64 v[10:11], 3, v[6:7]
	v_mul_lo_u16 v7, 0x5a, v4
	v_mul_u32_u24_sdwa v18, v59, v17 dst_sel:DWORD dst_unused:UNUSED_PAD src0_sel:WORD_0 src1_sel:DWORD
	v_add_co_u32 v10, vcc_lo, s2, v10
	v_add_co_ci_u32_e32 v11, vcc_lo, s3, v11, vcc_lo
	v_sub_nc_u16 v7, v8, v7
	v_lshrrev_b32_e32 v73, 20, v18
	v_mul_u32_u24_sdwa v18, v58, v17 dst_sel:DWORD dst_unused:UNUSED_PAD src0_sel:WORD_0 src1_sel:DWORD
	global_load_dwordx2 v[48:49], v[10:11], off offset:320
	v_mul_u32_u24_sdwa v10, v56, v17 dst_sel:DWORD dst_unused:UNUSED_PAD src0_sel:WORD_0 src1_sel:DWORD
	v_and_b32_e32 v7, 0xff, v7
	v_cmp_lt_u16_e32 vcc_lo, 8, v54
	v_lshrrev_b32_e32 v160, 20, v18
	v_mul_u32_u24_sdwa v18, v67, v17 dst_sel:DWORD dst_unused:UNUSED_PAD src0_sel:WORD_0 src1_sel:DWORD
	v_lshrrev_b32_e32 v19, 20, v10
	v_lshlrev_b32_e32 v11, 3, v7
	v_lshrrev_b32_e32 v164, 20, v18
	v_mul_lo_u16 v10, 0x5a, v19
	global_load_dwordx2 v[44:45], v11, s[2:3] offset:320
	v_sub_nc_u16 v57, v56, v10
	v_lshlrev_b16 v10, 3, v57
	v_mad_u16 v19, 0x10e, v19, v57
	v_lshlrev_b32_e32 v57, 3, v8
	v_and_b32_e32 v10, 0xffff, v10
	v_add_co_u32 v10, s0, s2, v10
	v_add_co_ci_u32_e64 v11, null, s3, 0, s0
	global_load_dwordx2 v[40:41], v[10:11], off offset:320
	v_mul_lo_u16 v10, 0x5a, v73
	v_sub_nc_u16 v75, v59, v10
	v_lshlrev_b32_e32 v59, 3, v59
	v_lshlrev_b16 v10, 3, v75
	v_and_b32_e32 v10, 0xffff, v10
	v_add_co_u32 v10, s0, s2, v10
	v_add_co_ci_u32_e64 v11, null, s3, 0, s0
	global_load_dwordx2 v[36:37], v[10:11], off offset:320
	v_mul_lo_u16 v10, 0x5a, v160
	v_sub_nc_u16 v161, v58, v10
	v_lshlrev_b32_e32 v58, 3, v58
	v_lshlrev_b16 v10, 3, v161
	v_and_b32_e32 v10, 0xffff, v10
	v_add_co_u32 v10, s0, s2, v10
	v_add_co_ci_u32_e64 v11, null, s3, 0, s0
	global_load_dwordx2 v[32:33], v[10:11], off offset:320
	v_mul_lo_u16 v10, 0x5a, v164
	v_sub_nc_u16 v166, v67, v10
	v_mul_u32_u24_sdwa v10, v66, v17 dst_sel:DWORD dst_unused:UNUSED_PAD src0_sel:WORD_0 src1_sel:DWORD
	v_lshlrev_b16 v11, 3, v166
	v_lshrrev_b32_e32 v168, 20, v10
	v_and_b32_e32 v10, 0xffff, v11
	v_mul_lo_u16 v18, 0x5a, v168
	v_add_co_u32 v10, s0, s2, v10
	v_add_co_ci_u32_e64 v11, null, s3, 0, s0
	v_sub_nc_u16 v169, v66, v18
	global_load_dwordx2 v[20:21], v[10:11], off offset:320
	v_lshlrev_b16 v10, 3, v169
	v_and_b32_e32 v10, 0xffff, v10
	v_add_co_u32 v10, s0, s2, v10
	v_add_co_ci_u32_e64 v11, null, s3, 0, s0
	global_load_dwordx2 v[22:23], v[10:11], off offset:320
	v_mul_u32_u24_sdwa v10, v72, v17 dst_sel:DWORD dst_unused:UNUSED_PAD src0_sel:WORD_0 src1_sel:DWORD
	v_mul_u32_u24_sdwa v11, v74, v17 dst_sel:DWORD dst_unused:UNUSED_PAD src0_sel:WORD_0 src1_sel:DWORD
	v_lshrrev_b32_e32 v174, 20, v10
	v_lshrrev_b32_e32 v17, 20, v11
	v_mul_lo_u16 v10, 0x5a, v174
	v_mul_lo_u16 v17, 0x5a, v17
	v_sub_nc_u16 v175, v72, v10
	v_sub_nc_u16 v187, v74, v17
	v_lshlrev_b16 v10, 3, v175
	v_and_b32_e32 v10, 0xffff, v10
	v_add_co_u32 v10, s0, s2, v10
	v_add_co_ci_u32_e64 v11, null, s3, 0, s0
	global_load_dwordx2 v[24:25], v[10:11], off offset:320
	v_lshlrev_b16 v10, 3, v187
	ds_read2_b32 v[17:18], v140 offset0:42 offset1:123
	ds_read2_b32 v[26:27], v152 offset0:84 offset1:165
	ds_read2_b32 v[28:29], v148 offset1:81
	v_and_b32_e32 v10, 0xffff, v10
	v_add_co_u32 v10, s0, s2, v10
	v_add_co_ci_u32_e64 v11, null, s3, 0, s0
	v_add_co_u32 v8, s0, 0xffffffe5, v145
	global_load_dwordx2 v[10:11], v[10:11], off offset:320
	s_waitcnt lgkmcnt(2)
	v_lshrrev_b32_e32 v30, 16, v17
	s_waitcnt lgkmcnt(1)
	v_lshrrev_b32_e32 v31, 16, v26
	v_lshrrev_b32_e32 v167, 16, v18
	v_lshrrev_b32_e32 v170, 16, v27
	s_waitcnt lgkmcnt(0)
	v_lshrrev_b32_e32 v162, 16, v28
	s_waitcnt vmcnt(9)
	v_mul_f16_sdwa v34, v17, v50 dst_sel:DWORD dst_unused:UNUSED_PAD src0_sel:DWORD src1_sel:WORD_1
	v_mul_f16_sdwa v35, v26, v51 dst_sel:DWORD dst_unused:UNUSED_PAD src0_sel:DWORD src1_sel:WORD_1
	;; [unrolled: 1-line block ×4, first 2 shown]
	v_fmac_f16_e32 v34, v30, v50
	v_fmac_f16_e32 v35, v31, v51
	v_fma_f16 v17, v17, v50, -v38
	v_fma_f16 v26, v26, v51, -v39
	v_add_f16_e32 v38, v162, v34
	v_add_f16_e32 v30, v34, v35
	v_sub_f16_e32 v163, v34, v35
	v_add_f16_e32 v31, v17, v26
	v_add_f16_e32 v34, v28, v17
	s_waitcnt vmcnt(8)
	v_mul_f16_sdwa v198, v167, v48 dst_sel:DWORD dst_unused:UNUSED_PAD src0_sel:DWORD src1_sel:WORD_1
	v_mul_f16_sdwa v199, v170, v49 dst_sel:DWORD dst_unused:UNUSED_PAD src0_sel:DWORD src1_sel:WORD_1
	v_fmac_f16_e32 v162, -0.5, v30
	v_fma_f16 v28, -0.5, v31, v28
	v_sub_f16_e32 v17, v17, v26
	v_mul_f16_sdwa v200, v18, v48 dst_sel:DWORD dst_unused:UNUSED_PAD src0_sel:DWORD src1_sel:WORD_1
	v_mul_f16_sdwa v201, v27, v49 dst_sel:DWORD dst_unused:UNUSED_PAD src0_sel:DWORD src1_sel:WORD_1
	v_fma_f16 v18, v18, v48, -v198
	v_fma_f16 v27, v27, v49, -v199
	v_add_f16_e32 v30, v38, v35
	v_add_f16_e32 v26, v34, v26
	v_fmamk_f16 v31, v163, 0x3aee, v28
	v_fmamk_f16 v34, v17, 0xbaee, v162
	v_fmac_f16_e32 v200, v167, v48
	v_fmac_f16_e32 v201, v170, v49
	v_add_f16_e32 v170, v18, v27
	v_lshrrev_b32_e32 v198, 16, v29
	v_pack_b32_f16 v26, v26, v30
	v_pack_b32_f16 v165, v31, v34
	ds_read2_b32 v[30:31], v148 offset0:162 offset1:243
	ds_read2_b32 v[34:35], v155 offset0:76 offset1:157
	;; [unrolled: 1-line block ×11, first 2 shown]
	v_fmac_f16_e32 v28, 0xbaee, v163
	v_add_f16_e32 v163, v200, v201
	v_add_f16_e32 v199, v29, v18
	v_fmac_f16_e32 v29, -0.5, v170
	v_add_f16_e32 v170, v198, v200
	v_cndmask_b32_e64 v167, 0, 0x10e, vcc_lo
	v_sub_f16_e32 v200, v200, v201
	v_fmac_f16_e32 v198, -0.5, v163
	v_sub_f16_e32 v18, v18, v27
	v_fmac_f16_e32 v162, 0x3aee, v17
	v_add_f16_e32 v17, v170, v201
	v_add_f16_e32 v27, v199, v27
	ds_read2_b32 v[172:173], v131 offset0:92 offset1:173
	s_waitcnt vmcnt(0) lgkmcnt(0)
	s_barrier
	buffer_gl0_inv
	v_fmamk_f16 v163, v200, 0x3aee, v29
	v_fmamk_f16 v170, v18, 0xbaee, v198
	v_pack_b32_f16 v28, v28, v162
	ds_write2_b32 v148, v26, v165 offset1:90
	v_add_lshl_u32 v165, v6, v167, 2
	v_pack_b32_f16 v6, v27, v17
	v_lshrrev_b32_e32 v26, 16, v34
	v_lshrrev_b32_e32 v27, 16, v38
	v_pack_b32_f16 v17, v163, v170
	ds_write_b32 v148, v28 offset:720
	v_mul_f16_sdwa v28, v34, v44 dst_sel:DWORD dst_unused:UNUSED_PAD src0_sel:DWORD src1_sel:WORD_1
	v_mul_f16_sdwa v162, v38, v45 dst_sel:DWORD dst_unused:UNUSED_PAD src0_sel:DWORD src1_sel:WORD_1
	v_fmac_f16_e32 v198, 0x3aee, v18
	v_mul_f16_sdwa v18, v26, v44 dst_sel:DWORD dst_unused:UNUSED_PAD src0_sel:DWORD src1_sel:WORD_1
	v_mul_f16_sdwa v163, v27, v45 dst_sel:DWORD dst_unused:UNUSED_PAD src0_sel:DWORD src1_sel:WORD_1
	v_fmac_f16_e32 v28, v26, v44
	v_fmac_f16_e32 v162, v27, v45
	;; [unrolled: 1-line block ×3, first 2 shown]
	v_fma_f16 v18, v34, v44, -v18
	v_fma_f16 v27, v38, v45, -v163
	v_lshrrev_b32_e32 v26, 16, v30
	ds_write2_b32 v165, v6, v17 offset1:90
	v_add_f16_e32 v6, v28, v162
	v_pack_b32_f16 v17, v29, v198
	v_add_f16_e32 v34, v18, v27
	v_add_f16_e32 v29, v26, v28
	v_sub_f16_e32 v28, v28, v162
	v_fmac_f16_e32 v26, -0.5, v6
	v_mov_b32_e32 v6, 0x10e
	v_add_f16_e32 v38, v30, v18
	v_fma_f16 v30, -0.5, v34, v30
	v_sub_f16_e32 v18, v18, v27
	v_add_f16_e32 v29, v29, v162
	v_mul_u32_u24_sdwa v4, v4, v6 dst_sel:DWORD dst_unused:UNUSED_PAD src0_sel:WORD_0 src1_sel:DWORD
	v_add_f16_e32 v6, v38, v27
	v_fmamk_f16 v27, v28, 0x3aee, v30
	v_fmamk_f16 v34, v18, 0xbaee, v26
	v_lshrrev_b32_e32 v38, 16, v35
	v_lshrrev_b32_e32 v162, 16, v39
	v_add_lshl_u32 v163, v4, v7, 2
	v_pack_b32_f16 v4, v6, v29
	v_pack_b32_f16 v6, v27, v34
	v_mul_f16_sdwa v7, v38, v40 dst_sel:DWORD dst_unused:UNUSED_PAD src0_sel:DWORD src1_sel:WORD_1
	v_mul_f16_sdwa v27, v162, v41 dst_sel:DWORD dst_unused:UNUSED_PAD src0_sel:DWORD src1_sel:WORD_1
	;; [unrolled: 1-line block ×4, first 2 shown]
	ds_write_b32 v165, v17 offset:720
	v_fma_f16 v7, v35, v40, -v7
	v_fma_f16 v17, v39, v41, -v27
	v_fmac_f16_e32 v29, v38, v40
	v_fmac_f16_e32 v34, v162, v41
	v_lshrrev_b32_e32 v27, 16, v31
	v_fmac_f16_e32 v30, 0xbaee, v28
	v_add_f16_e32 v28, v7, v17
	v_fmac_f16_e32 v26, 0x3aee, v18
	v_add_f16_e32 v18, v29, v34
	v_add_f16_e32 v35, v31, v7
	v_add_f16_e32 v38, v27, v29
	v_fmac_f16_e32 v31, -0.5, v28
	v_sub_f16_e32 v28, v29, v34
	v_fmac_f16_e32 v27, -0.5, v18
	v_sub_f16_e32 v7, v7, v17
	v_add_f16_e32 v18, v38, v34
	v_add_f16_e32 v17, v35, v17
	v_pack_b32_f16 v26, v30, v26
	v_fmamk_f16 v29, v28, 0x3aee, v31
	v_fmamk_f16 v30, v7, 0xbaee, v27
	ds_write2_b32 v163, v4, v6 offset1:90
	ds_write_b32 v163, v26 offset:720
	v_pack_b32_f16 v4, v17, v18
	v_lshrrev_b32_e32 v17, 16, v46
	v_lshrrev_b32_e32 v18, 16, v64
	v_pack_b32_f16 v6, v29, v30
	v_lshlrev_b32_sdwa v162, v55, v19 dst_sel:DWORD dst_unused:UNUSED_PAD src0_sel:DWORD src1_sel:WORD_0
	v_fmac_f16_e32 v31, 0xbaee, v28
	v_mul_f16_sdwa v19, v46, v36 dst_sel:DWORD dst_unused:UNUSED_PAD src0_sel:DWORD src1_sel:WORD_1
	v_mul_f16_sdwa v26, v64, v37 dst_sel:DWORD dst_unused:UNUSED_PAD src0_sel:DWORD src1_sel:WORD_1
	;; [unrolled: 1-line block ×4, first 2 shown]
	v_fmac_f16_e32 v27, 0x3aee, v7
	v_fmac_f16_e32 v19, v17, v36
	;; [unrolled: 1-line block ×3, first 2 shown]
	v_fma_f16 v7, v46, v36, -v28
	v_fma_f16 v17, v64, v37, -v29
	v_lshrrev_b32_e32 v18, 16, v42
	ds_write2_b32 v162, v4, v6 offset1:90
	v_pack_b32_f16 v4, v31, v27
	v_add_f16_e32 v6, v19, v26
	v_add_f16_e32 v27, v7, v17
	;; [unrolled: 1-line block ×3, first 2 shown]
	v_sub_f16_e32 v19, v19, v26
	v_add_f16_e32 v29, v42, v7
	v_fmac_f16_e32 v18, -0.5, v6
	v_fma_f16 v6, -0.5, v27, v42
	v_sub_f16_e32 v7, v7, v17
	v_add_f16_e32 v26, v28, v26
	v_add_f16_e32 v17, v29, v17
	ds_write_b32 v162, v4 offset:720
	v_fmamk_f16 v4, v19, 0x3aee, v6
	v_fmamk_f16 v27, v7, 0xbaee, v18
	v_lshrrev_b32_e32 v28, 16, v47
	v_lshrrev_b32_e32 v29, 16, v65
	v_pack_b32_f16 v17, v17, v26
	v_mul_f16_sdwa v31, v47, v32 dst_sel:DWORD dst_unused:UNUSED_PAD src0_sel:DWORD src1_sel:WORD_1
	v_pack_b32_f16 v4, v4, v27
	v_mul_f16_sdwa v26, v28, v32 dst_sel:DWORD dst_unused:UNUSED_PAD src0_sel:DWORD src1_sel:WORD_1
	v_mul_f16_sdwa v27, v29, v33 dst_sel:DWORD dst_unused:UNUSED_PAD src0_sel:DWORD src1_sel:WORD_1
	;; [unrolled: 1-line block ×3, first 2 shown]
	v_fmac_f16_e32 v31, v28, v32
	v_mad_u16 v30, 0x10e, v73, v75
	v_fma_f16 v26, v47, v32, -v26
	v_fma_f16 v27, v65, v33, -v27
	v_fmac_f16_e32 v34, v29, v33
	v_fmac_f16_e32 v6, 0xbaee, v19
	v_lshrrev_b32_e32 v19, 16, v43
	v_fmac_f16_e32 v18, 0x3aee, v7
	v_add_f16_e32 v28, v26, v27
	v_add_f16_e32 v7, v31, v34
	v_lshlrev_b32_sdwa v167, v55, v30 dst_sel:DWORD dst_unused:UNUSED_PAD src0_sel:DWORD src1_sel:WORD_0
	v_add_f16_e32 v29, v43, v26
	v_add_f16_e32 v30, v19, v31
	v_fmac_f16_e32 v43, -0.5, v28
	v_sub_f16_e32 v28, v31, v34
	v_fmac_f16_e32 v19, -0.5, v7
	v_sub_f16_e32 v7, v26, v27
	v_add_f16_e32 v26, v30, v34
	v_pack_b32_f16 v6, v6, v18
	v_add_f16_e32 v18, v29, v27
	v_fmamk_f16 v27, v28, 0x3aee, v43
	v_fmamk_f16 v29, v7, 0xbaee, v19
	ds_write2_b32 v167, v17, v4 offset1:90
	ds_write_b32 v167, v6 offset:720
	v_fmac_f16_e32 v43, 0xbaee, v28
	v_pack_b32_f16 v6, v18, v26
	v_lshrrev_b32_e32 v18, 16, v106
	v_pack_b32_f16 v17, v27, v29
	v_mul_f16_sdwa v26, v106, v20 dst_sel:DWORD dst_unused:UNUSED_PAD src0_sel:DWORD src1_sel:WORD_1
	v_lshrrev_b32_e32 v27, 16, v108
	v_mul_f16_sdwa v28, v108, v21 dst_sel:DWORD dst_unused:UNUSED_PAD src0_sel:DWORD src1_sel:WORD_1
	v_fmac_f16_e32 v19, 0x3aee, v7
	v_mul_f16_sdwa v7, v18, v20 dst_sel:DWORD dst_unused:UNUSED_PAD src0_sel:DWORD src1_sel:WORD_1
	v_fmac_f16_e32 v26, v18, v20
	v_lshrrev_b32_e32 v18, 16, v68
	v_fmac_f16_e32 v28, v27, v21
	v_mul_f16_sdwa v27, v27, v21 dst_sel:DWORD dst_unused:UNUSED_PAD src0_sel:DWORD src1_sel:WORD_1
	v_fma_f16 v7, v106, v20, -v7
	v_lshrrev_b32_e32 v34, 16, v107
	v_add_f16_e32 v29, v18, v26
	v_add_f16_e32 v30, v26, v28
	v_fma_f16 v27, v108, v21, -v27
	v_add_f16_e32 v31, v68, v7
	v_lshrrev_b32_e32 v35, 16, v109
	v_sub_f16_e32 v26, v26, v28
	v_fmac_f16_e32 v18, -0.5, v30
	v_add_f16_e32 v30, v7, v27
	v_add_f16_e32 v28, v29, v28
	v_add_f16_e32 v29, v31, v27
	v_mul_f16_sdwa v31, v34, v22 dst_sel:DWORD dst_unused:UNUSED_PAD src0_sel:DWORD src1_sel:WORD_1
	v_sub_f16_e32 v7, v7, v27
	v_fma_f16 v30, -0.5, v30, v68
	v_mul_f16_sdwa v38, v35, v23 dst_sel:DWORD dst_unused:UNUSED_PAD src0_sel:DWORD src1_sel:WORD_1
	v_mul_f16_sdwa v39, v107, v22 dst_sel:DWORD dst_unused:UNUSED_PAD src0_sel:DWORD src1_sel:WORD_1
	;; [unrolled: 1-line block ×3, first 2 shown]
	v_pack_b32_f16 v19, v43, v19
	v_fma_f16 v31, v107, v22, -v31
	v_fmamk_f16 v43, v26, 0x3aee, v30
	v_fmamk_f16 v46, v7, 0xbaee, v18
	v_fma_f16 v38, v109, v23, -v38
	v_fmac_f16_e32 v39, v34, v22
	v_fmac_f16_e32 v42, v35, v23
	v_mad_u16 v4, 0x10e, v160, v161
	v_pack_b32_f16 v28, v29, v28
	v_pack_b32_f16 v29, v43, v46
	v_add_f16_e32 v34, v31, v38
	v_lshrrev_b32_e32 v35, 16, v69
	v_add_f16_e32 v43, v39, v42
	v_fmac_f16_e32 v30, 0xbaee, v26
	v_add_f16_e32 v26, v69, v31
	v_fmac_f16_e32 v69, -0.5, v34
	v_add_f16_e32 v34, v35, v39
	v_fmac_f16_e32 v35, -0.5, v43
	v_lshlrev_b32_sdwa v170, v55, v4 dst_sel:DWORD dst_unused:UNUSED_PAD src0_sel:DWORD src1_sel:WORD_0
	v_sub_f16_e32 v4, v39, v42
	v_sub_f16_e32 v31, v31, v38
	v_mad_u16 v27, 0x10e, v164, v166
	v_fmac_f16_e32 v18, 0x3aee, v7
	v_add_f16_e32 v7, v34, v42
	v_add_f16_e32 v26, v26, v38
	v_fmamk_f16 v34, v4, 0x3aee, v69
	v_fmamk_f16 v38, v31, 0xbaee, v35
	v_mad_u16 v39, 0x10e, v168, v169
	v_fmac_f16_e32 v69, 0xbaee, v4
	v_lshrrev_b32_e32 v4, 16, v112
	v_lshlrev_b32_sdwa v169, v55, v27 dst_sel:DWORD dst_unused:UNUSED_PAD src0_sel:DWORD src1_sel:WORD_0
	v_pack_b32_f16 v18, v30, v18
	v_pack_b32_f16 v7, v26, v7
	;; [unrolled: 1-line block ×3, first 2 shown]
	v_lshlrev_b32_sdwa v160, v55, v39 dst_sel:DWORD dst_unused:UNUSED_PAD src0_sel:DWORD src1_sel:WORD_0
	ds_write2_b32 v170, v6, v17 offset1:90
	ds_write_b32 v170, v19 offset:720
	ds_write2_b32 v169, v28, v29 offset1:90
	ds_write_b32 v169, v18 offset:720
	ds_write2_b32 v160, v7, v26 offset1:90
	v_mul_f16_sdwa v6, v112, v24 dst_sel:DWORD dst_unused:UNUSED_PAD src0_sel:DWORD src1_sel:WORD_1
	v_lshrrev_b32_e32 v7, 16, v172
	v_mul_f16_sdwa v17, v172, v25 dst_sel:DWORD dst_unused:UNUSED_PAD src0_sel:DWORD src1_sel:WORD_1
	v_mul_f16_sdwa v18, v4, v24 dst_sel:DWORD dst_unused:UNUSED_PAD src0_sel:DWORD src1_sel:WORD_1
	v_lshrrev_b32_e32 v19, 16, v110
	v_fmac_f16_e32 v6, v4, v24
	v_mul_f16_sdwa v4, v7, v25 dst_sel:DWORD dst_unused:UNUSED_PAD src0_sel:DWORD src1_sel:WORD_1
	v_fmac_f16_e32 v17, v7, v25
	v_fma_f16 v7, v112, v24, -v18
	v_fmac_f16_e32 v35, 0x3aee, v31
	v_add_f16_e32 v26, v19, v6
	v_fma_f16 v4, v172, v25, -v4
	v_add_f16_e32 v27, v6, v17
	v_add_f16_e32 v28, v110, v7
	v_sub_f16_e32 v6, v6, v17
	v_add_f16_e32 v17, v26, v17
	v_pack_b32_f16 v18, v69, v35
	v_fmac_f16_e32 v19, -0.5, v27
	v_add_f16_e32 v26, v28, v4
	v_lshrrev_b32_e32 v27, 16, v113
	v_lshrrev_b32_e32 v28, 16, v173
	v_add_f16_e32 v29, v7, v4
	v_mul_f16_sdwa v35, v113, v10 dst_sel:DWORD dst_unused:UNUSED_PAD src0_sel:DWORD src1_sel:WORD_1
	v_mul_f16_sdwa v38, v173, v11 dst_sel:DWORD dst_unused:UNUSED_PAD src0_sel:DWORD src1_sel:WORD_1
	v_mul_f16_sdwa v30, v27, v10 dst_sel:DWORD dst_unused:UNUSED_PAD src0_sel:DWORD src1_sel:WORD_1
	v_mul_f16_sdwa v31, v28, v11 dst_sel:DWORD dst_unused:UNUSED_PAD src0_sel:DWORD src1_sel:WORD_1
	v_sub_f16_e32 v4, v7, v4
	v_fma_f16 v7, -0.5, v29, v110
	v_fmac_f16_e32 v35, v27, v10
	v_fma_f16 v30, v113, v10, -v30
	v_fma_f16 v31, v173, v11, -v31
	v_fmac_f16_e32 v38, v28, v11
	v_mad_u16 v29, 0x10e, v174, v175
	v_pack_b32_f16 v17, v26, v17
	v_fmamk_f16 v26, v6, 0x3aee, v7
	v_fmamk_f16 v34, v4, 0xbaee, v19
	v_add_f16_e32 v27, v30, v31
	v_lshrrev_b32_e32 v28, 16, v111
	v_fmac_f16_e32 v7, 0xbaee, v6
	v_add_f16_e32 v6, v35, v38
	v_pack_b32_f16 v26, v26, v34
	v_lshlrev_b32_sdwa v164, v55, v29 dst_sel:DWORD dst_unused:UNUSED_PAD src0_sel:DWORD src1_sel:WORD_0
	v_add_f16_e32 v29, v111, v30
	v_fmac_f16_e32 v111, -0.5, v27
	v_add_f16_e32 v27, v28, v35
	v_sub_f16_e32 v34, v35, v38
	v_fmac_f16_e32 v28, -0.5, v6
	v_sub_f16_e32 v6, v30, v31
	v_fmac_f16_e32 v19, 0x3aee, v4
	v_add_f16_e32 v4, v27, v38
	v_add_f16_e32 v27, v29, v31
	v_fmamk_f16 v29, v34, 0x3aee, v111
	v_fmamk_f16 v30, v6, 0xbaee, v28
	v_fmac_f16_e32 v111, 0xbaee, v34
	v_fmac_f16_e32 v28, 0x3aee, v6
	v_lshlrev_b32_sdwa v166, v55, v187 dst_sel:DWORD dst_unused:UNUSED_PAD src0_sel:DWORD src1_sel:WORD_0
	v_pack_b32_f16 v6, v7, v19
	v_pack_b32_f16 v4, v27, v4
	v_pack_b32_f16 v7, v29, v30
	v_pack_b32_f16 v19, v111, v28
	v_lshlrev_b32_e32 v28, 3, v5
	v_add_nc_u32_e32 v168, 0x2000, v166
	ds_write_b32 v160, v18 offset:720
	ds_write2_b32 v164, v17, v26 offset1:90
	ds_write_b32 v164, v6 offset:720
	ds_write2_b32 v168, v4, v7 offset0:112 offset1:202
	ds_write_b32 v166, v19 offset:9360
	s_waitcnt lgkmcnt(0)
	s_barrier
	buffer_gl0_inv
	s_clause 0x2
	global_load_dwordx2 v[6:7], v16, s[2:3] offset:1040
	global_load_dwordx2 v[4:5], v28, s[2:3] offset:1040
	;; [unrolled: 1-line block ×3, first 2 shown]
	v_add_co_ci_u32_e64 v17, null, 0, -1, s0
	v_cmp_gt_u16_e32 vcc_lo, 27, v54
	v_mov_b32_e32 v18, 0x795d
	v_cndmask_b32_e32 v65, v17, v9, vcc_lo
	v_cndmask_b32_e32 v64, v8, v56, vcc_lo
	v_mul_u32_u24_sdwa v17, v66, v18 dst_sel:DWORD dst_unused:UNUSED_PAD src0_sel:WORD_0 src1_sel:DWORD
	v_lshlrev_b32_e32 v56, 3, v56
	v_lshlrev_b64 v[8:9], 3, v[64:65]
	v_lshrrev_b32_e32 v17, 23, v17
	v_add_co_u32 v8, vcc_lo, s2, v8
	v_add_co_ci_u32_e32 v9, vcc_lo, s3, v9, vcc_lo
	v_mul_lo_u16 v17, 0x10e, v17
	global_load_dwordx2 v[46:47], v[8:9], off offset:1040
	v_sub_nc_u16 v29, v66, v17
	v_add_co_u32 v17, s0, s2, v16
	v_add_co_ci_u32_e64 v19, null, s3, 0, s0
	v_lshlrev_b16 v8, 3, v29
	v_add_co_u32 v26, vcc_lo, 0x800, v17
	v_add_co_ci_u32_e32 v27, vcc_lo, 0, v19, vcc_lo
	v_and_b32_e32 v8, 0xffff, v8
	v_cmp_lt_u16_e32 vcc_lo, 26, v54
	v_lshlrev_b32_e32 v66, 3, v66
	v_add_co_u32 v8, s0, s2, v8
	v_add_co_ci_u32_e64 v9, null, s3, 0, s0
	s_clause 0x2
	global_load_dwordx2 v[38:39], v16, s[2:3] offset:1472
	global_load_dwordx2 v[16:17], v[8:9], off offset:1040
	global_load_dwordx2 v[34:35], v[26:27], off offset:72
	v_mul_u32_u24_sdwa v8, v67, v18 dst_sel:DWORD dst_unused:UNUSED_PAD src0_sel:WORD_0 src1_sel:DWORD
	v_cndmask_b32_e64 v54, 0, 0x32a, vcc_lo
	v_lshrrev_b32_e32 v65, 23, v8
	v_mul_lo_u16 v8, 0x10e, v65
	v_sub_nc_u16 v73, v67, v8
	v_mul_u32_u24_sdwa v8, v72, v18 dst_sel:DWORD dst_unused:UNUSED_PAD src0_sel:WORD_0 src1_sel:DWORD
	v_mul_u32_u24_sdwa v18, v74, v18 dst_sel:DWORD dst_unused:UNUSED_PAD src0_sel:WORD_0 src1_sel:DWORD
	v_lshlrev_b32_e32 v67, 3, v67
	v_lshlrev_b16 v9, 3, v73
	v_lshrrev_b32_e32 v8, 23, v8
	v_lshrrev_b32_e32 v18, 23, v18
	v_mad_u16 v65, 0x32a, v65, v73
	v_and_b32_e32 v9, 0xffff, v9
	v_mul_lo_u16 v19, 0x10e, v8
	v_mul_lo_u16 v18, 0x10e, v18
	v_add_co_u32 v8, s0, s2, v9
	v_add_co_ci_u32_e64 v9, null, s3, 0, s0
	v_sub_nc_u16 v75, v72, v19
	v_sub_nc_u16 v187, v74, v18
	v_lshlrev_b32_e32 v72, 3, v72
	global_load_dwordx2 v[30:31], v[8:9], off offset:1040
	v_lshlrev_b32_e32 v74, 3, v74
	v_lshlrev_b16 v8, 3, v75
	v_lshlrev_b16 v9, 3, v187
	v_and_b32_e32 v8, 0xffff, v8
	v_and_b32_e32 v18, 0xffff, v9
	v_add_co_u32 v8, s0, s2, v8
	v_add_co_ci_u32_e64 v9, null, s3, 0, s0
	v_add_co_u32 v68, s0, s2, v18
	v_add_co_ci_u32_e64 v69, null, s3, 0, s0
	s_clause 0x1
	global_load_dwordx2 v[18:19], v[8:9], off offset:1040
	global_load_dwordx2 v[8:9], v[68:69], off offset:1040
	ds_read2_b32 v[68:69], v140 offset0:42 offset1:123
	ds_read2_b32 v[106:107], v152 offset0:84 offset1:165
	ds_read2_b32 v[108:109], v148 offset1:81
	s_waitcnt lgkmcnt(2)
	v_lshrrev_b32_e32 v111, 16, v69
	v_lshrrev_b32_e32 v110, 16, v68
	s_waitcnt lgkmcnt(1)
	v_lshrrev_b32_e32 v161, 16, v106
	v_lshrrev_b32_e32 v172, 16, v107
	s_waitcnt vmcnt(9)
	v_mul_f16_sdwa v112, v110, v6 dst_sel:DWORD dst_unused:UNUSED_PAD src0_sel:DWORD src1_sel:WORD_1
	s_waitcnt vmcnt(8)
	v_mul_f16_sdwa v113, v111, v4 dst_sel:DWORD dst_unused:UNUSED_PAD src0_sel:DWORD src1_sel:WORD_1
	v_mul_f16_sdwa v173, v172, v5 dst_sel:DWORD dst_unused:UNUSED_PAD src0_sel:DWORD src1_sel:WORD_1
	;; [unrolled: 1-line block ×4, first 2 shown]
	v_fma_f16 v112, v68, v6, -v112
	v_fma_f16 v210, v69, v4, -v113
	v_mul_f16_sdwa v113, v161, v7 dst_sel:DWORD dst_unused:UNUSED_PAD src0_sel:DWORD src1_sel:WORD_1
	v_mul_f16_sdwa v68, v68, v6 dst_sel:DWORD dst_unused:UNUSED_PAD src0_sel:DWORD src1_sel:WORD_1
	;; [unrolled: 1-line block ×3, first 2 shown]
	v_fma_f16 v212, v107, v5, -v173
	v_fmac_f16_e32 v211, v111, v4
	v_fma_f16 v106, v106, v7, -v113
	v_fmac_f16_e32 v68, v110, v6
	v_fmac_f16_e32 v69, v161, v7
	s_waitcnt lgkmcnt(0)
	v_lshrrev_b32_e32 v110, 16, v108
	v_add_f16_e32 v113, v108, v112
	v_add_f16_e32 v107, v112, v106
	v_lshrrev_b32_e32 v161, 16, v109
	v_add_f16_e32 v111, v68, v69
	v_fmac_f16_e32 v213, v172, v5
	v_add_f16_e32 v217, v210, v212
	v_fma_f16 v107, -0.5, v107, v108
	v_sub_f16_e32 v108, v68, v69
	v_add_f16_e32 v68, v110, v68
	v_fmac_f16_e32 v110, -0.5, v111
	v_sub_f16_e32 v111, v112, v106
	v_add_f16_e32 v106, v113, v106
	v_fmamk_f16 v112, v108, 0x3aee, v107
	v_fmac_f16_e32 v107, 0xbaee, v108
	v_add_f16_e32 v108, v109, v210
	v_add_f16_e32 v113, v161, v211
	;; [unrolled: 1-line block ×3, first 2 shown]
	v_fmamk_f16 v69, v111, 0xbaee, v110
	v_fmac_f16_e32 v110, 0x3aee, v111
	v_add_f16_e32 v108, v108, v212
	v_add_f16_e32 v111, v113, v213
	v_pack_b32_f16 v214, v106, v68
	v_pack_b32_f16 v215, v112, v69
	;; [unrolled: 1-line block ×3, first 2 shown]
	v_sub_f16_e32 v210, v210, v212
	v_pack_b32_f16 v108, v108, v111
	ds_read2_b32 v[68:69], v148 offset0:162 offset1:243
	ds_read2_b32 v[106:107], v155 offset0:76 offset1:157
	;; [unrolled: 1-line block ×12, first 2 shown]
	s_waitcnt vmcnt(0) lgkmcnt(0)
	s_barrier
	buffer_gl0_inv
	ds_write_b32 v148, v215 offset:1080
	v_add_f16_e32 v215, v211, v213
	ds_write_b32 v148, v216 offset:2160
	ds_write2_b32 v148, v214, v108 offset1:81
	v_sub_f16_e32 v108, v211, v213
	v_fmac_f16_e32 v109, -0.5, v217
	v_lshrrev_b32_e32 v211, 16, v106
	v_lshrrev_b32_e32 v213, 16, v110
	v_mul_f16_sdwa v212, v106, v42 dst_sel:DWORD dst_unused:UNUSED_PAD src0_sel:DWORD src1_sel:WORD_1
	v_mul_f16_sdwa v214, v110, v43 dst_sel:DWORD dst_unused:UNUSED_PAD src0_sel:DWORD src1_sel:WORD_1
	v_fmac_f16_e32 v161, -0.5, v215
	v_mul_f16_sdwa v215, v211, v42 dst_sel:DWORD dst_unused:UNUSED_PAD src0_sel:DWORD src1_sel:WORD_1
	v_mul_f16_sdwa v216, v213, v43 dst_sel:DWORD dst_unused:UNUSED_PAD src0_sel:DWORD src1_sel:WORD_1
	v_fmac_f16_e32 v212, v211, v42
	v_fmac_f16_e32 v214, v213, v43
	v_fmamk_f16 v217, v108, 0x3aee, v109
	v_fma_f16 v106, v106, v42, -v215
	v_lshrrev_b32_e32 v211, 16, v68
	v_fmac_f16_e32 v109, 0xbaee, v108
	v_add_f16_e32 v108, v212, v214
	v_fma_f16 v110, v110, v43, -v216
	v_fmamk_f16 v213, v210, 0xbaee, v161
	v_add_f16_e32 v216, v211, v212
	v_fmac_f16_e32 v161, 0x3aee, v210
	v_fmac_f16_e32 v211, -0.5, v108
	v_add_f16_e32 v108, v68, v106
	v_add_f16_e32 v215, v106, v110
	;; [unrolled: 1-line block ×3, first 2 shown]
	v_sub_f16_e32 v212, v212, v214
	v_sub_f16_e32 v106, v106, v110
	v_add_f16_e32 v108, v108, v110
	v_fma_f16 v68, -0.5, v215, v68
	v_pack_b32_f16 v109, v109, v161
	v_pack_b32_f16 v161, v217, v213
	v_fmamk_f16 v214, v106, 0xbaee, v211
	v_pack_b32_f16 v108, v108, v210
	v_lshrrev_b32_e32 v210, 16, v107
	v_fmamk_f16 v110, v212, 0x3aee, v68
	v_fmac_f16_e32 v68, 0xbaee, v212
	v_lshrrev_b32_e32 v212, 16, v111
	v_fmac_f16_e32 v211, 0x3aee, v106
	v_mul_f16_sdwa v106, v210, v46 dst_sel:DWORD dst_unused:UNUSED_PAD src0_sel:DWORD src1_sel:WORD_1
	v_pack_b32_f16 v110, v110, v214
	ds_write_b32 v148, v108 offset:648
	ds_write2_b32 v143, v161, v110 offset0:95 offset1:176
	v_mul_f16_sdwa v108, v212, v47 dst_sel:DWORD dst_unused:UNUSED_PAD src0_sel:DWORD src1_sel:WORD_1
	v_fma_f16 v106, v107, v46, -v106
	v_mul_f16_sdwa v107, v107, v46 dst_sel:DWORD dst_unused:UNUSED_PAD src0_sel:DWORD src1_sel:WORD_1
	v_mul_f16_sdwa v110, v111, v47 dst_sel:DWORD dst_unused:UNUSED_PAD src0_sel:DWORD src1_sel:WORD_1
	v_pack_b32_f16 v68, v68, v211
	v_fma_f16 v108, v111, v47, -v108
	v_add_lshl_u32 v161, v64, v54, 2
	v_fmac_f16_e32 v107, v210, v46
	v_fmac_f16_e32 v110, v212, v47
	ds_write2_b32 v156, v109, v68 offset0:109 offset1:190
	v_add_f16_e32 v68, v106, v108
	v_lshrrev_b32_e32 v54, 16, v69
	v_add_f16_e32 v109, v69, v106
	v_add_f16_e32 v64, v107, v110
	v_lshrrev_b32_e32 v210, 16, v173
	v_fmac_f16_e32 v69, -0.5, v68
	v_sub_f16_e32 v68, v107, v110
	v_add_f16_e32 v107, v54, v107
	v_fmac_f16_e32 v54, -0.5, v64
	v_sub_f16_e32 v64, v106, v108
	v_lshrrev_b32_e32 v106, 16, v172
	v_lshrrev_b32_e32 v212, 16, v174
	v_fmamk_f16 v111, v68, 0x3aee, v69
	v_fmac_f16_e32 v69, 0xbaee, v68
	v_fmamk_f16 v68, v64, 0xbaee, v54
	v_mul_f16_sdwa v211, v106, v38 dst_sel:DWORD dst_unused:UNUSED_PAD src0_sel:DWORD src1_sel:WORD_1
	v_mul_f16_sdwa v213, v210, v34 dst_sel:DWORD dst_unused:UNUSED_PAD src0_sel:DWORD src1_sel:WORD_1
	v_fmac_f16_e32 v54, 0x3aee, v64
	v_lshrrev_b32_e32 v214, 16, v175
	v_add_f16_e32 v108, v109, v108
	v_fma_f16 v64, v172, v38, -v211
	v_mul_f16_sdwa v211, v212, v39 dst_sel:DWORD dst_unused:UNUSED_PAD src0_sel:DWORD src1_sel:WORD_1
	v_mul_f16_sdwa v172, v172, v38 dst_sel:DWORD dst_unused:UNUSED_PAD src0_sel:DWORD src1_sel:WORD_1
	v_fma_f16 v213, v173, v34, -v213
	v_mul_f16_sdwa v173, v173, v34 dst_sel:DWORD dst_unused:UNUSED_PAD src0_sel:DWORD src1_sel:WORD_1
	v_mul_f16_sdwa v215, v214, v35 dst_sel:DWORD dst_unused:UNUSED_PAD src0_sel:DWORD src1_sel:WORD_1
	v_fma_f16 v211, v174, v39, -v211
	v_mul_f16_sdwa v174, v174, v39 dst_sel:DWORD dst_unused:UNUSED_PAD src0_sel:DWORD src1_sel:WORD_1
	v_fmac_f16_e32 v172, v106, v38
	v_lshrrev_b32_e32 v106, 16, v112
	v_fmac_f16_e32 v173, v210, v34
	v_add_f16_e32 v210, v112, v64
	v_fmac_f16_e32 v174, v212, v39
	v_fma_f16 v215, v175, v35, -v215
	v_add_f16_e32 v212, v106, v172
	v_mul_f16_sdwa v175, v175, v35 dst_sel:DWORD dst_unused:UNUSED_PAD src0_sel:DWORD src1_sel:WORD_1
	v_add_f16_e32 v107, v107, v110
	v_add_f16_e32 v110, v210, v211
	v_lshrrev_b32_e32 v109, 16, v113
	v_add_f16_e32 v210, v212, v174
	v_fmac_f16_e32 v175, v214, v35
	v_pack_b32_f16 v54, v69, v54
	v_pack_b32_f16 v69, v108, v107
	;; [unrolled: 1-line block ×4, first 2 shown]
	v_add_f16_e32 v110, v172, v174
	v_add_f16_e32 v111, v64, v211
	;; [unrolled: 1-line block ×4, first 2 shown]
	ds_write_b32 v161, v69
	v_sub_f16_e32 v69, v172, v174
	v_add_f16_e32 v172, v213, v215
	v_fmac_f16_e32 v106, -0.5, v110
	v_fma_f16 v110, -0.5, v111, v112
	v_sub_f16_e32 v64, v64, v211
	v_add_f16_e32 v111, v173, v175
	v_add_f16_e32 v212, v214, v215
	;; [unrolled: 1-line block ×3, first 2 shown]
	v_fmac_f16_e32 v113, -0.5, v172
	v_sub_f16_e32 v112, v173, v175
	v_fmamk_f16 v172, v69, 0x3aee, v110
	v_fmamk_f16 v173, v64, 0xbaee, v106
	v_fmac_f16_e32 v109, -0.5, v111
	v_sub_f16_e32 v111, v213, v215
	v_pack_b32_f16 v108, v212, v214
	ds_write_b32 v161, v68 offset:1080
	ds_write_b32 v161, v54 offset:2160
	v_pack_b32_f16 v54, v172, v173
	v_fmamk_f16 v68, v112, 0x3aee, v113
	v_fmamk_f16 v172, v111, 0xbaee, v109
	v_fmac_f16_e32 v110, 0xbaee, v69
	v_lshrrev_b32_e32 v69, 16, v201
	v_fmac_f16_e32 v113, 0xbaee, v112
	v_fmac_f16_e32 v109, 0x3aee, v111
	;; [unrolled: 1-line block ×3, first 2 shown]
	v_lshrrev_b32_e32 v64, 16, v200
	v_pack_b32_f16 v68, v68, v172
	ds_write2_b32 v140, v107, v108 offset0:96 offset1:177
	v_mul_f16_sdwa v107, v69, v16 dst_sel:DWORD dst_unused:UNUSED_PAD src0_sel:DWORD src1_sel:WORD_1
	v_pack_b32_f16 v109, v113, v109
	v_pack_b32_f16 v106, v110, v106
	v_mul_f16_sdwa v110, v64, v30 dst_sel:DWORD dst_unused:UNUSED_PAD src0_sel:DWORD src1_sel:WORD_1
	ds_write2_b32 v154, v54, v68 offset0:110 offset1:191
	ds_write2_b32 v137, v106, v109 offset0:124 offset1:205
	v_mul_f16_sdwa v68, v200, v30 dst_sel:DWORD dst_unused:UNUSED_PAD src0_sel:DWORD src1_sel:WORD_1
	v_fma_f16 v106, v201, v16, -v107
	v_lshrrev_b32_e32 v107, 16, v202
	v_mul_f16_sdwa v108, v201, v16 dst_sel:DWORD dst_unused:UNUSED_PAD src0_sel:DWORD src1_sel:WORD_1
	v_lshrrev_b32_e32 v109, 16, v203
	v_fma_f16 v54, v200, v30, -v110
	v_fmac_f16_e32 v68, v64, v30
	v_mul_f16_sdwa v64, v202, v31 dst_sel:DWORD dst_unused:UNUSED_PAD src0_sel:DWORD src1_sel:WORD_1
	v_mul_f16_sdwa v110, v107, v31 dst_sel:DWORD dst_unused:UNUSED_PAD src0_sel:DWORD src1_sel:WORD_1
	v_fmac_f16_e32 v108, v69, v16
	v_mul_f16_sdwa v69, v109, v17 dst_sel:DWORD dst_unused:UNUSED_PAD src0_sel:DWORD src1_sel:WORD_1
	v_mul_f16_sdwa v174, v203, v17 dst_sel:DWORD dst_unused:UNUSED_PAD src0_sel:DWORD src1_sel:WORD_1
	v_lshrrev_b32_e32 v111, 16, v206
	v_fmac_f16_e32 v64, v107, v31
	v_fma_f16 v107, v202, v31, -v110
	v_lshrrev_b32_e32 v110, 16, v207
	v_fma_f16 v69, v203, v17, -v69
	v_lshrrev_b32_e32 v113, 16, v208
	v_mul_f16_sdwa v201, v206, v18 dst_sel:DWORD dst_unused:UNUSED_PAD src0_sel:DWORD src1_sel:WORD_1
	v_mul_f16_sdwa v203, v208, v19 dst_sel:DWORD dst_unused:UNUSED_PAD src0_sel:DWORD src1_sel:WORD_1
	v_fmac_f16_e32 v174, v109, v17
	v_mul_f16_sdwa v112, v111, v18 dst_sel:DWORD dst_unused:UNUSED_PAD src0_sel:DWORD src1_sel:WORD_1
	v_mul_f16_sdwa v173, v110, v8 dst_sel:DWORD dst_unused:UNUSED_PAD src0_sel:DWORD src1_sel:WORD_1
	;; [unrolled: 1-line block ×3, first 2 shown]
	v_fmac_f16_e32 v201, v111, v18
	v_add_f16_e32 v109, v106, v69
	v_fmac_f16_e32 v203, v113, v19
	v_lshrrev_b32_e32 v111, 16, v199
	v_add_f16_e32 v113, v108, v174
	v_lshrrev_b32_e32 v172, 16, v209
	v_fma_f16 v112, v206, v18, -v112
	v_fma_f16 v173, v207, v8, -v173
	v_mul_f16_sdwa v202, v207, v8 dst_sel:DWORD dst_unused:UNUSED_PAD src0_sel:DWORD src1_sel:WORD_1
	v_mul_f16_sdwa v206, v209, v9 dst_sel:DWORD dst_unused:UNUSED_PAD src0_sel:DWORD src1_sel:WORD_1
	v_add_f16_e32 v207, v199, v106
	v_fmac_f16_e32 v199, -0.5, v109
	v_sub_f16_e32 v109, v108, v174
	v_add_f16_e32 v108, v111, v108
	v_fmac_f16_e32 v111, -0.5, v113
	v_sub_f16_e32 v106, v106, v69
	v_add_f16_e32 v113, v54, v107
	v_mul_f16_sdwa v200, v172, v9 dst_sel:DWORD dst_unused:UNUSED_PAD src0_sel:DWORD src1_sel:WORD_1
	v_fmac_f16_e32 v202, v110, v8
	v_fmamk_f16 v110, v109, 0x3aee, v199
	v_fmac_f16_e32 v199, 0xbaee, v109
	v_fmamk_f16 v109, v106, 0xbaee, v111
	v_fmac_f16_e32 v111, 0x3aee, v106
	v_fmac_f16_e32 v206, v172, v9
	v_fma_f16 v106, -0.5, v113, v198
	v_lshrrev_b32_e32 v113, 16, v198
	v_add_f16_e32 v172, v68, v64
	v_fma_f16 v200, v209, v9, -v200
	v_pack_b32_f16 v111, v199, v111
	v_add_f16_e32 v198, v198, v54
	v_sub_f16_e32 v199, v68, v64
	v_add_f16_e32 v68, v113, v68
	v_fmac_f16_e32 v113, -0.5, v172
	v_sub_f16_e32 v54, v54, v107
	v_fma_f16 v175, v208, v19, -v175
	v_add_f16_e32 v107, v198, v107
	v_fmamk_f16 v172, v199, 0x3aee, v106
	v_fmac_f16_e32 v106, 0xbaee, v199
	v_add_f16_e32 v64, v68, v64
	v_fmamk_f16 v68, v54, 0xbaee, v113
	v_add_f16_e32 v198, v173, v200
	v_fmac_f16_e32 v113, 0x3aee, v54
	v_lshrrev_b32_e32 v54, 16, v205
	v_add_f16_e32 v199, v202, v206
	v_add_f16_e32 v208, v205, v173
	v_fmac_f16_e32 v205, -0.5, v198
	v_sub_f16_e32 v198, v202, v206
	v_add_f16_e32 v202, v54, v202
	v_fmac_f16_e32 v54, -0.5, v199
	v_sub_f16_e32 v173, v173, v200
	v_add_f16_e32 v69, v207, v69
	v_add_f16_e32 v207, v112, v175
	v_fmamk_f16 v199, v198, 0x3aee, v205
	v_fmac_f16_e32 v205, 0xbaee, v198
	v_fmamk_f16 v198, v173, 0xbaee, v54
	v_fmac_f16_e32 v54, 0x3aee, v173
	v_fma_f16 v173, -0.5, v207, v204
	v_lshrrev_b32_e32 v207, 16, v204
	v_add_f16_e32 v108, v108, v174
	v_add_f16_e32 v174, v201, v203
	v_pack_b32_f16 v54, v205, v54
	v_add_f16_e32 v204, v204, v112
	v_sub_f16_e32 v205, v201, v203
	v_add_f16_e32 v201, v207, v201
	v_fmac_f16_e32 v207, -0.5, v174
	v_sub_f16_e32 v112, v112, v175
	v_add_f16_e32 v174, v204, v175
	v_pack_b32_f16 v64, v107, v64
	v_add_f16_e32 v201, v201, v203
	v_pack_b32_f16 v68, v172, v68
	v_lshlrev_b32_sdwa v172, v55, v65 dst_sel:DWORD dst_unused:UNUSED_PAD src0_sel:DWORD src1_sel:WORD_0
	v_fmamk_f16 v204, v205, 0x3aee, v173
	v_fmamk_f16 v203, v112, 0xbaee, v207
	v_fmac_f16_e32 v173, 0xbaee, v205
	v_fmac_f16_e32 v207, 0x3aee, v112
	v_pack_b32_f16 v65, v106, v113
	v_add_f16_e32 v73, v208, v200
	v_add_f16_e32 v112, v202, v206
	v_pack_b32_f16 v69, v69, v108
	v_lshlrev_b32_sdwa v175, v55, v29 dst_sel:DWORD dst_unused:UNUSED_PAD src0_sel:DWORD src1_sel:WORD_0
	v_pack_b32_f16 v29, v110, v109
	ds_write_b32 v172, v64
	ds_write_b32 v172, v68 offset:1080
	ds_write_b32 v172, v65 offset:2160
	;; [unrolled: 1-line block ×5, first 2 shown]
	v_pack_b32_f16 v29, v174, v201
	v_lshlrev_b32_sdwa v174, v55, v75 dst_sel:DWORD dst_unused:UNUSED_PAD src0_sel:DWORD src1_sel:WORD_0
	v_pack_b32_f16 v64, v204, v203
	v_pack_b32_f16 v65, v173, v207
	v_lshlrev_b32_sdwa v173, v55, v187 dst_sel:DWORD dst_unused:UNUSED_PAD src0_sel:DWORD src1_sel:WORD_0
	v_pack_b32_f16 v55, v73, v112
	v_pack_b32_f16 v68, v199, v198
	ds_write_b32 v174, v29 offset:6480
	ds_write_b32 v174, v64 offset:7560
	;; [unrolled: 1-line block ×6, first 2 shown]
	v_add_co_u32 v54, s0, s2, v28
	v_add_co_ci_u32_e64 v55, null, s3, 0, s0
	s_waitcnt lgkmcnt(0)
	s_barrier
	buffer_gl0_inv
	global_load_dwordx2 v[28:29], v[26:27], off offset:1152
	v_add_co_u32 v26, vcc_lo, 0x800, v54
	v_add_co_ci_u32_e32 v27, vcc_lo, 0, v55, vcc_lo
	v_add_co_u32 v54, s0, s2, v57
	v_add_co_ci_u32_e64 v55, null, s3, 0, s0
	global_load_dwordx2 v[26:27], v[26:27], off offset:1152
	v_add_co_u32 v54, vcc_lo, 0x800, v54
	v_add_co_ci_u32_e32 v55, vcc_lo, 0, v55, vcc_lo
	v_add_co_u32 v56, s0, s2, v56
	v_add_co_ci_u32_e64 v57, null, s3, 0, s0
	;; [unrolled: 5-line block ×5, first 2 shown]
	global_load_dwordx2 v[58:59], v[58:59], off offset:1152
	v_add_co_u32 v67, vcc_lo, 0x800, v67
	v_add_co_ci_u32_e32 v68, vcc_lo, 0, v68, vcc_lo
	v_add_co_u32 v66, s0, s2, v66
	global_load_dwordx2 v[68:69], v[67:68], off offset:1152
	v_add_co_ci_u32_e64 v67, null, s3, 0, s0
	v_add_co_u32 v66, vcc_lo, 0x800, v66
	v_add_co_u32 v72, s0, s2, v72
	v_add_co_ci_u32_e32 v67, vcc_lo, 0, v67, vcc_lo
	v_add_co_ci_u32_e64 v73, null, s3, 0, s0
	v_add_co_u32 v72, vcc_lo, 0x800, v72
	global_load_dwordx2 v[66:67], v[66:67], off offset:1152
	v_add_co_ci_u32_e32 v73, vcc_lo, 0, v73, vcc_lo
	v_add_co_u32 v74, s0, s2, v74
	v_add_co_ci_u32_e64 v75, null, s3, 0, s0
	global_load_dwordx2 v[72:73], v[72:73], off offset:1152
	v_add_co_u32 v74, vcc_lo, 0x800, v74
	v_add_co_ci_u32_e32 v75, vcc_lo, 0, v75, vcc_lo
	s_mov_b32 s2, 0x40e53dbc
	s_mov_b32 s3, 0x3f3af834
	global_load_dwordx2 v[74:75], v[74:75], off offset:1152
	ds_read2_b32 v[106:107], v140 offset0:42 offset1:123
	ds_read2_b32 v[108:109], v152 offset0:84 offset1:165
	ds_read2_b32 v[110:111], v148 offset1:81
	s_waitcnt lgkmcnt(2)
	v_lshrrev_b32_e32 v112, 16, v106
	s_waitcnt lgkmcnt(1)
	v_lshrrev_b32_e32 v187, 16, v108
	v_lshrrev_b32_e32 v198, 16, v107
	s_waitcnt lgkmcnt(0)
	v_lshrrev_b32_e32 v219, 16, v111
	s_waitcnt vmcnt(9)
	v_mul_f16_sdwa v113, v106, v28 dst_sel:DWORD dst_unused:UNUSED_PAD src0_sel:DWORD src1_sel:WORD_1
	v_mul_f16_sdwa v199, v112, v28 dst_sel:DWORD dst_unused:UNUSED_PAD src0_sel:DWORD src1_sel:WORD_1
	;; [unrolled: 1-line block ×3, first 2 shown]
	v_fmac_f16_e32 v113, v112, v28
	v_lshrrev_b32_e32 v112, 16, v109
	v_fma_f16 v106, v106, v28, -v199
	v_mul_f16_sdwa v199, v108, v29 dst_sel:DWORD dst_unused:UNUSED_PAD src0_sel:DWORD src1_sel:WORD_1
	s_waitcnt vmcnt(8)
	v_mul_f16_sdwa v201, v198, v26 dst_sel:DWORD dst_unused:UNUSED_PAD src0_sel:DWORD src1_sel:WORD_1
	v_fma_f16 v108, v108, v29, -v200
	v_mul_f16_sdwa v202, v112, v27 dst_sel:DWORD dst_unused:UNUSED_PAD src0_sel:DWORD src1_sel:WORD_1
	v_mul_f16_sdwa v217, v107, v26 dst_sel:DWORD dst_unused:UNUSED_PAD src0_sel:DWORD src1_sel:WORD_1
	v_fmac_f16_e32 v199, v187, v29
	v_fma_f16 v216, v107, v26, -v201
	v_add_f16_e32 v107, v106, v108
	v_fma_f16 v187, v109, v27, -v202
	v_mul_f16_sdwa v218, v109, v27 dst_sel:DWORD dst_unused:UNUSED_PAD src0_sel:DWORD src1_sel:WORD_1
	v_lshrrev_b32_e32 v200, 16, v110
	v_add_f16_e32 v109, v113, v199
	v_add_f16_e32 v201, v110, v106
	v_fma_f16 v110, -0.5, v107, v110
	v_sub_f16_e32 v107, v113, v199
	v_add_f16_e32 v113, v200, v113
	v_fmac_f16_e32 v200, -0.5, v109
	v_sub_f16_e32 v106, v106, v108
	v_add_f16_e32 v201, v201, v108
	v_fmamk_f16 v202, v107, 0x3aee, v110
	v_fmac_f16_e32 v110, 0xbaee, v107
	v_fmac_f16_e32 v217, v198, v26
	v_fmamk_f16 v198, v106, 0xbaee, v200
	v_fmac_f16_e32 v200, 0x3aee, v106
	ds_read2_b32 v[106:107], v155 offset0:76 offset1:157
	ds_read2_b32 v[108:109], v134 offset0:118 offset1:199
	v_add_f16_e32 v113, v113, v199
	v_fmac_f16_e32 v218, v112, v27
	v_add_f16_e32 v112, v111, v216
	v_add_f16_e32 v199, v219, v217
	v_pack_b32_f16 v221, v202, v198
	v_pack_b32_f16 v220, v201, v113
	;; [unrolled: 1-line block ×3, first 2 shown]
	v_add_f16_e32 v112, v112, v187
	v_add_f16_e32 v199, v199, v218
	;; [unrolled: 1-line block ×3, first 2 shown]
	v_sub_f16_e32 v187, v216, v187
	v_pack_b32_f16 v222, v112, v199
	ds_read2_b32 v[112:113], v148 offset0:162 offset1:243
	ds_read2_b32 v[198:199], v143 offset0:68 offset1:149
	;; [unrolled: 1-line block ×10, first 2 shown]
	ds_write_b32 v148, v221 offset:3240
	v_fmac_f16_e32 v111, -0.5, v224
	ds_write_b32 v148, v110 offset:6480
	s_waitcnt lgkmcnt(13)
	v_lshrrev_b32_e32 v221, 16, v106
	s_waitcnt lgkmcnt(12)
	v_lshrrev_b32_e32 v223, 16, v108
	s_waitcnt vmcnt(7)
	v_mul_f16_sdwa v225, v106, v54 dst_sel:DWORD dst_unused:UNUSED_PAD src0_sel:DWORD src1_sel:WORD_1
	v_mul_f16_sdwa v226, v108, v55 dst_sel:DWORD dst_unused:UNUSED_PAD src0_sel:DWORD src1_sel:WORD_1
	ds_write2_b32 v148, v220, v222 offset1:81
	v_mul_f16_sdwa v227, v221, v54 dst_sel:DWORD dst_unused:UNUSED_PAD src0_sel:DWORD src1_sel:WORD_1
	v_mul_f16_sdwa v228, v223, v55 dst_sel:DWORD dst_unused:UNUSED_PAD src0_sel:DWORD src1_sel:WORD_1
	v_fmac_f16_e32 v225, v221, v54
	v_fmac_f16_e32 v226, v223, v55
	v_add_f16_e32 v221, v217, v218
	v_fma_f16 v106, v106, v54, -v227
	v_fma_f16 v108, v108, v55, -v228
	v_sub_f16_e32 v217, v217, v218
	s_waitcnt lgkmcnt(12)
	v_lshrrev_b32_e32 v218, 16, v112
	v_add_f16_e32 v223, v225, v226
	v_fmac_f16_e32 v219, -0.5, v221
	v_add_f16_e32 v224, v106, v108
	v_fmamk_f16 v110, v217, 0x3aee, v111
	v_add_f16_e32 v216, v218, v225
	v_fmac_f16_e32 v218, -0.5, v223
	v_sub_f16_e32 v223, v225, v226
	v_fma_f16 v221, -0.5, v224, v112
	v_sub_f16_e32 v224, v106, v108
	v_fmamk_f16 v225, v187, 0xbaee, v219
	v_fmac_f16_e32 v111, 0xbaee, v217
	v_fmac_f16_e32 v219, 0x3aee, v187
	v_fmamk_f16 v227, v223, 0x3aee, v221
	v_fmamk_f16 v228, v224, 0xbaee, v218
	v_lshrrev_b32_e32 v217, 16, v107
	v_pack_b32_f16 v110, v110, v225
	v_lshrrev_b32_e32 v220, 16, v109
	v_pack_b32_f16 v111, v111, v219
	v_pack_b32_f16 v187, v227, v228
	s_waitcnt vmcnt(6)
	v_mul_f16_sdwa v219, v217, v56 dst_sel:DWORD dst_unused:UNUSED_PAD src0_sel:DWORD src1_sel:WORD_1
	v_fmac_f16_e32 v221, 0xbaee, v223
	v_fmac_f16_e32 v218, 0x3aee, v224
	v_add_f16_e32 v106, v112, v106
	ds_write2_b32 v140, v110, v187 offset0:123 offset1:204
	v_mul_f16_sdwa v110, v220, v57 dst_sel:DWORD dst_unused:UNUSED_PAD src0_sel:DWORD src1_sel:WORD_1
	v_fma_f16 v112, v107, v56, -v219
	v_pack_b32_f16 v187, v221, v218
	v_add_f16_e32 v106, v106, v108
	v_add_f16_e32 v108, v216, v226
	v_fma_f16 v110, v109, v57, -v110
	v_add_f16_e32 v216, v113, v112
	v_mul_f16_sdwa v109, v109, v57 dst_sel:DWORD dst_unused:UNUSED_PAD src0_sel:DWORD src1_sel:WORD_1
	ds_write2_b32 v152, v111, v187 offset0:165 offset1:246
	v_pack_b32_f16 v106, v106, v108
	s_waitcnt lgkmcnt(12)
	v_lshrrev_b32_e32 v187, 16, v200
	v_add_f16_e32 v108, v216, v110
	s_waitcnt lgkmcnt(11)
	v_lshrrev_b32_e32 v216, 16, v202
	v_mul_f16_sdwa v107, v107, v56 dst_sel:DWORD dst_unused:UNUSED_PAD src0_sel:DWORD src1_sel:WORD_1
	v_fmac_f16_e32 v109, v220, v57
	s_waitcnt vmcnt(5)
	v_mul_f16_sdwa v219, v200, v64 dst_sel:DWORD dst_unused:UNUSED_PAD src0_sel:DWORD src1_sel:WORD_1
	v_mul_f16_sdwa v220, v202, v65 dst_sel:DWORD dst_unused:UNUSED_PAD src0_sel:DWORD src1_sel:WORD_1
	;; [unrolled: 1-line block ×4, first 2 shown]
	v_fmac_f16_e32 v107, v217, v56
	v_add_f16_e32 v218, v112, v110
	v_fmac_f16_e32 v219, v187, v64
	v_fmac_f16_e32 v220, v216, v65
	v_fma_f16 v187, v200, v64, -v221
	v_fma_f16 v200, v202, v65, -v222
	v_lshrrev_b32_e32 v217, 16, v113
	v_fmac_f16_e32 v113, -0.5, v218
	v_add_f16_e32 v202, v107, v109
	v_lshrrev_b32_e32 v216, 16, v198
	v_add_f16_e32 v218, v219, v220
	v_add_f16_e32 v221, v187, v200
	;; [unrolled: 1-line block ×3, first 2 shown]
	v_sub_f16_e32 v107, v107, v109
	v_fmac_f16_e32 v217, -0.5, v202
	v_sub_f16_e32 v110, v112, v110
	v_add_f16_e32 v112, v216, v219
	v_fmac_f16_e32 v216, -0.5, v218
	v_fma_f16 v202, -0.5, v221, v198
	v_sub_f16_e32 v218, v219, v220
	v_sub_f16_e32 v219, v187, v200
	v_add_f16_e32 v109, v111, v109
	v_fmamk_f16 v111, v107, 0x3aee, v113
	v_fmamk_f16 v221, v110, 0xbaee, v217
	;; [unrolled: 1-line block ×4, first 2 shown]
	v_pack_b32_f16 v108, v108, v109
	v_fmac_f16_e32 v113, 0xbaee, v107
	v_fmac_f16_e32 v217, 0x3aee, v110
	v_pack_b32_f16 v107, v111, v221
	v_pack_b32_f16 v109, v222, v223
	v_lshrrev_b32_e32 v110, 16, v201
	v_add_f16_e32 v111, v198, v187
	ds_write2_b32 v148, v106, v108 offset0:162 offset1:243
	v_lshrrev_b32_e32 v106, 16, v203
	ds_write2_b32 v154, v107, v109 offset0:29 offset1:110
	s_waitcnt vmcnt(4)
	v_mul_f16_sdwa v107, v110, v58 dst_sel:DWORD dst_unused:UNUSED_PAD src0_sel:DWORD src1_sel:WORD_1
	v_mul_f16_sdwa v187, v203, v59 dst_sel:DWORD dst_unused:UNUSED_PAD src0_sel:DWORD src1_sel:WORD_1
	v_add_f16_e32 v111, v111, v200
	v_add_f16_e32 v112, v112, v220
	v_pack_b32_f16 v108, v113, v217
	v_fmac_f16_e32 v202, 0xbaee, v218
	v_mul_f16_sdwa v109, v106, v59 dst_sel:DWORD dst_unused:UNUSED_PAD src0_sel:DWORD src1_sel:WORD_1
	v_fmac_f16_e32 v216, 0x3aee, v219
	v_fma_f16 v107, v201, v58, -v107
	v_mul_f16_sdwa v113, v201, v58 dst_sel:DWORD dst_unused:UNUSED_PAD src0_sel:DWORD src1_sel:WORD_1
	v_fmac_f16_e32 v187, v106, v59
	v_pack_b32_f16 v106, v111, v112
	s_waitcnt lgkmcnt(11)
	v_lshrrev_b32_e32 v112, 16, v206
	s_waitcnt lgkmcnt(10)
	v_lshrrev_b32_e32 v201, 16, v208
	v_fma_f16 v109, v203, v59, -v109
	v_pack_b32_f16 v200, v202, v216
	s_waitcnt vmcnt(3)
	v_mul_f16_sdwa v203, v206, v68 dst_sel:DWORD dst_unused:UNUSED_PAD src0_sel:DWORD src1_sel:WORD_1
	v_mul_f16_sdwa v216, v208, v69 dst_sel:DWORD dst_unused:UNUSED_PAD src0_sel:DWORD src1_sel:WORD_1
	;; [unrolled: 1-line block ×4, first 2 shown]
	v_fmac_f16_e32 v113, v110, v58
	v_add_f16_e32 v202, v107, v109
	v_fmac_f16_e32 v203, v112, v68
	v_fmac_f16_e32 v216, v201, v69
	v_fma_f16 v112, v206, v68, -v217
	v_fma_f16 v201, v208, v69, -v218
	v_add_f16_e32 v110, v199, v107
	v_lshrrev_b32_e32 v198, 16, v199
	v_fmac_f16_e32 v199, -0.5, v202
	v_add_f16_e32 v202, v113, v187
	v_lshrrev_b32_e32 v206, 16, v204
	v_add_f16_e32 v208, v203, v216
	v_add_f16_e32 v217, v112, v201
	;; [unrolled: 1-line block ×4, first 2 shown]
	v_sub_f16_e32 v113, v113, v187
	v_fmac_f16_e32 v198, -0.5, v202
	v_sub_f16_e32 v107, v107, v109
	v_add_f16_e32 v109, v206, v203
	v_fmac_f16_e32 v206, -0.5, v208
	v_fma_f16 v202, -0.5, v217, v204
	v_sub_f16_e32 v203, v203, v216
	v_sub_f16_e32 v208, v112, v201
	v_add_f16_e32 v111, v111, v187
	v_fmamk_f16 v187, v113, 0x3aee, v199
	v_fmamk_f16 v217, v107, 0xbaee, v198
	;; [unrolled: 1-line block ×4, first 2 shown]
	v_pack_b32_f16 v110, v110, v111
	v_fmac_f16_e32 v199, 0xbaee, v113
	v_fmac_f16_e32 v198, 0x3aee, v107
	v_pack_b32_f16 v107, v187, v217
	v_pack_b32_f16 v111, v218, v219
	v_add_nc_u32_e32 v187, 0x1200, v148
	ds_write2_b32 v149, v108, v200 offset0:71 offset1:152
	v_lshrrev_b32_e32 v108, 16, v207
	ds_write2_b32 v143, v106, v110 offset0:68 offset1:149
	v_pack_b32_f16 v106, v199, v198
	ds_write2_b32 v187, v107, v111 offset0:63 offset1:144
	v_lshrrev_b32_e32 v107, 16, v209
	v_fmac_f16_e32 v202, 0xbaee, v203
	s_waitcnt vmcnt(2)
	v_mul_f16_sdwa v111, v207, v66 dst_sel:DWORD dst_unused:UNUSED_PAD src0_sel:DWORD src1_sel:WORD_1
	v_fmac_f16_e32 v206, 0x3aee, v208
	v_mul_f16_sdwa v198, v209, v67 dst_sel:DWORD dst_unused:UNUSED_PAD src0_sel:DWORD src1_sel:WORD_1
	v_mul_f16_sdwa v110, v108, v66 dst_sel:DWORD dst_unused:UNUSED_PAD src0_sel:DWORD src1_sel:WORD_1
	v_mul_f16_sdwa v113, v107, v67 dst_sel:DWORD dst_unused:UNUSED_PAD src0_sel:DWORD src1_sel:WORD_1
	v_fmac_f16_e32 v111, v108, v66
	v_add_f16_e32 v112, v204, v112
	v_fmac_f16_e32 v198, v107, v67
	v_pack_b32_f16 v200, v202, v206
	v_fma_f16 v110, v207, v66, -v110
	v_lshrrev_b32_e32 v108, 16, v205
	v_fma_f16 v113, v209, v67, -v113
	v_add_f16_e32 v112, v112, v201
	v_add_f16_e32 v109, v109, v216
	ds_write2_b32 v158, v106, v200 offset0:105 offset1:186
	v_add_f16_e32 v106, v111, v198
	v_add_f16_e32 v107, v205, v110
	;; [unrolled: 1-line block ×4, first 2 shown]
	v_pack_b32_f16 v109, v112, v109
	v_fmac_f16_e32 v108, -0.5, v106
	v_sub_f16_e32 v106, v110, v113
	s_waitcnt lgkmcnt(12)
	v_lshrrev_b32_e32 v110, 16, v212
	s_waitcnt lgkmcnt(11)
	v_lshrrev_b32_e32 v112, 16, v214
	v_add_f16_e32 v199, v199, v198
	v_fmac_f16_e32 v205, -0.5, v201
	v_sub_f16_e32 v111, v111, v198
	s_waitcnt vmcnt(1)
	v_mul_f16_sdwa v198, v212, v72 dst_sel:DWORD dst_unused:UNUSED_PAD src0_sel:DWORD src1_sel:WORD_1
	v_mul_f16_sdwa v200, v110, v72 dst_sel:DWORD dst_unused:UNUSED_PAD src0_sel:DWORD src1_sel:WORD_1
	v_mul_f16_sdwa v201, v112, v73 dst_sel:DWORD dst_unused:UNUSED_PAD src0_sel:DWORD src1_sel:WORD_1
	v_add_f16_e32 v107, v107, v113
	v_fmamk_f16 v113, v111, 0x3aee, v205
	v_fmac_f16_e32 v205, 0xbaee, v111
	v_fmac_f16_e32 v198, v110, v72
	v_fma_f16 v110, v212, v72, -v200
	v_fma_f16 v111, v214, v73, -v201
	v_pack_b32_f16 v107, v107, v199
	v_mul_f16_sdwa v199, v214, v73 dst_sel:DWORD dst_unused:UNUSED_PAD src0_sel:DWORD src1_sel:WORD_1
	v_lshrrev_b32_e32 v202, 16, v215
	s_waitcnt vmcnt(0)
	v_mul_f16_sdwa v206, v213, v74 dst_sel:DWORD dst_unused:UNUSED_PAD src0_sel:DWORD src1_sel:WORD_1
	v_add_f16_e32 v201, v110, v111
	ds_write2_b32 v157, v109, v107 offset0:102 offset1:183
	v_fmac_f16_e32 v199, v112, v73
	v_fmamk_f16 v112, v106, 0xbaee, v108
	v_fmac_f16_e32 v108, 0x3aee, v106
	v_fma_f16 v109, -0.5, v201, v210
	v_lshrrev_b32_e32 v201, 16, v213
	v_lshrrev_b32_e32 v106, 16, v210
	v_add_f16_e32 v200, v198, v199
	v_pack_b32_f16 v107, v205, v108
	v_mul_f16_sdwa v205, v202, v75 dst_sel:DWORD dst_unused:UNUSED_PAD src0_sel:DWORD src1_sel:WORD_1
	v_mul_f16_sdwa v204, v201, v74 dst_sel:DWORD dst_unused:UNUSED_PAD src0_sel:DWORD src1_sel:WORD_1
	;; [unrolled: 1-line block ×3, first 2 shown]
	v_add_f16_e32 v108, v106, v198
	v_fmac_f16_e32 v106, -0.5, v200
	v_sub_f16_e32 v200, v110, v111
	v_add_f16_e32 v110, v210, v110
	v_fma_f16 v204, v213, v74, -v204
	v_fma_f16 v205, v215, v75, -v205
	v_fmac_f16_e32 v206, v201, v74
	v_fmac_f16_e32 v207, v202, v75
	v_add_f16_e32 v110, v110, v111
	v_lshrrev_b32_e32 v111, 16, v211
	v_sub_f16_e32 v198, v198, v199
	v_add_f16_e32 v201, v204, v205
	v_add_f16_e32 v108, v108, v199
	v_add_f16_e32 v199, v206, v207
	v_add_f16_e32 v202, v211, v204
	v_add_f16_e32 v208, v111, v206
	v_fmac_f16_e32 v211, -0.5, v201
	v_sub_f16_e32 v201, v206, v207
	v_fmac_f16_e32 v111, -0.5, v199
	v_sub_f16_e32 v199, v204, v205
	v_pack_b32_f16 v112, v113, v112
	v_fmamk_f16 v113, v198, 0x3aee, v109
	v_fmamk_f16 v203, v200, 0xbaee, v106
	v_add_f16_e32 v202, v202, v205
	v_add_f16_e32 v204, v208, v207
	v_fmamk_f16 v205, v201, 0x3aee, v211
	v_fmac_f16_e32 v211, 0xbaee, v201
	v_fmamk_f16 v201, v199, 0xbaee, v111
	v_fmac_f16_e32 v111, 0x3aee, v199
	v_fmac_f16_e32 v109, 0xbaee, v198
	;; [unrolled: 1-line block ×3, first 2 shown]
	v_pack_b32_f16 v113, v113, v203
	v_pack_b32_f16 v108, v110, v108
	;; [unrolled: 1-line block ×6, first 2 shown]
	ds_write_b32 v148, v107 offset:8748
	ds_write2_b32 v137, v112, v113 offset0:97 offset1:178
	ds_write2_b32 v156, v108, v110 offset0:136 offset1:217
	;; [unrolled: 1-line block ×3, first 2 shown]
	ds_write_b32 v148, v109 offset:6156
	s_waitcnt lgkmcnt(0)
	s_barrier
	buffer_gl0_inv
	global_load_dword v2, v[2:3], off offset:1528
	v_add_co_u32 v106, vcc_lo, 0x25f8, v104
	v_add_co_ci_u32_e32 v107, vcc_lo, 0, v105, vcc_lo
	s_clause 0x1
	global_load_dword v198, v[106:107], off offset:972
	global_load_dword v199, v[106:107], off offset:1296
	v_add_co_u32 v108, vcc_lo, 0x3000, v104
	v_add_co_ci_u32_e32 v109, vcc_lo, 0, v105, vcc_lo
	s_clause 0x3
	global_load_dword v200, v[108:109], off offset:348
	global_load_dword v201, v[108:109], off offset:672
	;; [unrolled: 1-line block ×4, first 2 shown]
	v_add_co_u32 v110, vcc_lo, 0x2800, v104
	v_add_co_ci_u32_e32 v111, vcc_lo, 0, v105, vcc_lo
	s_clause 0x1
	global_load_dword v204, v[110:111], off offset:1748
	global_load_dword v205, v[108:109], off offset:1320
	v_add_co_u32 v110, vcc_lo, 0x3800, v104
	v_add_co_ci_u32_e32 v111, vcc_lo, 0, v105, vcc_lo
	s_clause 0x3
	global_load_dword v206, v[110:111], off offset:244
	global_load_dword v207, v[110:111], off offset:568
	;; [unrolled: 1-line block ×4, first 2 shown]
	v_add_co_u32 v112, vcc_lo, 0x4000, v104
	v_add_co_ci_u32_e32 v113, vcc_lo, 0, v105, vcc_lo
	s_clause 0x4
	global_load_dword v210, v[112:113], off offset:140
	global_load_dword v211, v[112:113], off offset:464
	;; [unrolled: 1-line block ×5, first 2 shown]
	v_add_co_u32 v104, vcc_lo, 0x4800, v104
	v_add_co_ci_u32_e32 v105, vcc_lo, 0, v105, vcc_lo
	s_clause 0xb
	global_load_dword v215, v[104:105], off offset:36
	global_load_dword v216, v[104:105], off offset:360
	;; [unrolled: 1-line block ×12, first 2 shown]
	ds_read2_b32 v[104:105], v148 offset1:81
	s_waitcnt lgkmcnt(0)
	v_lshrrev_b32_e32 v3, 16, v104
	s_waitcnt vmcnt(29)
	v_mul_f16_sdwa v106, v104, v2 dst_sel:DWORD dst_unused:UNUSED_PAD src0_sel:DWORD src1_sel:WORD_1
	v_mul_f16_sdwa v107, v3, v2 dst_sel:DWORD dst_unused:UNUSED_PAD src0_sel:DWORD src1_sel:WORD_1
	v_fmac_f16_e32 v106, v3, v2
	v_fma_f16 v2, v104, v2, -v107
	v_pack_b32_f16 v2, v2, v106
	ds_write_b32 v148, v2
	ds_read2_b32 v[2:3], v148 offset0:162 offset1:243
	ds_read2_b32 v[106:107], v143 offset0:68 offset1:149
	;; [unrolled: 1-line block ×4, first 2 shown]
	s_waitcnt lgkmcnt(3)
	v_lshrrev_b32_e32 v104, 16, v3
	s_waitcnt vmcnt(28)
	v_mul_f16_sdwa v227, v3, v198 dst_sel:DWORD dst_unused:UNUSED_PAD src0_sel:DWORD src1_sel:WORD_1
	s_waitcnt lgkmcnt(2)
	v_lshrrev_b32_e32 v112, 16, v106
	s_waitcnt vmcnt(27)
	v_mul_f16_sdwa v228, v106, v199 dst_sel:DWORD dst_unused:UNUSED_PAD src0_sel:DWORD src1_sel:WORD_1
	s_waitcnt lgkmcnt(0)
	v_lshrrev_b32_e32 v229, 16, v110
	v_mul_f16_sdwa v113, v104, v198 dst_sel:DWORD dst_unused:UNUSED_PAD src0_sel:DWORD src1_sel:WORD_1
	v_fmac_f16_e32 v227, v104, v198
	v_mul_f16_sdwa v104, v112, v199 dst_sel:DWORD dst_unused:UNUSED_PAD src0_sel:DWORD src1_sel:WORD_1
	v_fmac_f16_e32 v228, v112, v199
	s_waitcnt vmcnt(25)
	v_mul_f16_sdwa v230, v110, v201 dst_sel:DWORD dst_unused:UNUSED_PAD src0_sel:DWORD src1_sel:WORD_1
	v_fma_f16 v3, v3, v198, -v113
	v_lshrrev_b32_e32 v198, 16, v109
	v_fma_f16 v104, v106, v199, -v104
	v_mul_f16_sdwa v106, v109, v200 dst_sel:DWORD dst_unused:UNUSED_PAD src0_sel:DWORD src1_sel:WORD_1
	v_mul_f16_sdwa v231, v229, v201 dst_sel:DWORD dst_unused:UNUSED_PAD src0_sel:DWORD src1_sel:WORD_1
	ds_read2_b32 v[112:113], v157 offset0:102 offset1:183
	v_mul_f16_sdwa v199, v198, v200 dst_sel:DWORD dst_unused:UNUSED_PAD src0_sel:DWORD src1_sel:WORD_1
	v_fmac_f16_e32 v230, v229, v201
	v_fmac_f16_e32 v106, v198, v200
	v_fma_f16 v198, v110, v201, -v231
	v_pack_b32_f16 v3, v3, v227
	v_fma_f16 v109, v109, v200, -v199
	v_pack_b32_f16 v104, v104, v228
	v_add_nc_u32_e32 v199, 0x200, v148
	v_pack_b32_f16 v198, v198, v230
	v_add_nc_u32_e32 v200, 0xa00, v148
	v_pack_b32_f16 v106, v109, v106
	ds_read2_b32 v[109:110], v155 offset0:76 offset1:157
	ds_write2_b32 v199, v3, v104 offset0:115 offset1:196
	ds_write2_b32 v200, v106, v198 offset0:89 offset1:170
	v_lshrrev_b32_e32 v227, 16, v105
	ds_read2_b32 v[198:199], v154 offset0:110 offset1:191
	ds_read2_b32 v[200:201], v137 offset0:16 offset1:97
	s_waitcnt vmcnt(24)
	v_mul_f16_sdwa v106, v105, v202 dst_sel:DWORD dst_unused:UNUSED_PAD src0_sel:DWORD src1_sel:WORD_1
	s_waitcnt lgkmcnt(5)
	v_lshrrev_b32_e32 v104, 16, v112
	v_mul_f16_sdwa v3, v227, v202 dst_sel:DWORD dst_unused:UNUSED_PAD src0_sel:DWORD src1_sel:WORD_1
	s_waitcnt vmcnt(23)
	v_mul_f16_sdwa v228, v112, v203 dst_sel:DWORD dst_unused:UNUSED_PAD src0_sel:DWORD src1_sel:WORD_1
	v_lshrrev_b32_e32 v229, 16, v113
	v_fmac_f16_e32 v106, v227, v202
	s_waitcnt vmcnt(22)
	v_mul_f16_sdwa v230, v113, v204 dst_sel:DWORD dst_unused:UNUSED_PAD src0_sel:DWORD src1_sel:WORD_1
	v_fma_f16 v3, v105, v202, -v3
	v_mul_f16_sdwa v105, v104, v203 dst_sel:DWORD dst_unused:UNUSED_PAD src0_sel:DWORD src1_sel:WORD_1
	v_fmac_f16_e32 v228, v104, v203
	v_mul_f16_sdwa v104, v229, v204 dst_sel:DWORD dst_unused:UNUSED_PAD src0_sel:DWORD src1_sel:WORD_1
	v_fmac_f16_e32 v230, v229, v204
	v_pack_b32_f16 v3, v3, v106
	s_waitcnt lgkmcnt(4)
	v_lshrrev_b32_e32 v202, 16, v109
	v_fma_f16 v227, v112, v203, -v105
	v_fma_f16 v232, v113, v204, -v104
	ds_read2_b32 v[104:105], v153 offset0:50 offset1:131
	s_waitcnt vmcnt(21)
	v_mul_f16_sdwa v231, v109, v205 dst_sel:DWORD dst_unused:UNUSED_PAD src0_sel:DWORD src1_sel:WORD_1
	v_mul_f16_sdwa v112, v202, v205 dst_sel:DWORD dst_unused:UNUSED_PAD src0_sel:DWORD src1_sel:WORD_1
	s_waitcnt lgkmcnt(2)
	v_lshrrev_b32_e32 v204, 16, v199
	s_waitcnt vmcnt(20)
	v_mul_f16_sdwa v233, v199, v206 dst_sel:DWORD dst_unused:UNUSED_PAD src0_sel:DWORD src1_sel:WORD_1
	s_waitcnt vmcnt(19) lgkmcnt(1)
	v_mul_f16_sdwa v235, v200, v207 dst_sel:DWORD dst_unused:UNUSED_PAD src0_sel:DWORD src1_sel:WORD_1
	v_fmac_f16_e32 v231, v202, v205
	v_fma_f16 v229, v109, v205, -v112
	v_lshrrev_b32_e32 v109, 16, v110
	v_lshrrev_b32_e32 v205, 16, v200
	v_mul_f16_sdwa v234, v204, v206 dst_sel:DWORD dst_unused:UNUSED_PAD src0_sel:DWORD src1_sel:WORD_1
	ds_read2_b32 v[112:113], v152 offset0:84 offset1:165
	ds_read2_b32 v[202:203], v134 offset0:118 offset1:199
	v_fmac_f16_e32 v233, v204, v206
	v_mul_f16_sdwa v236, v205, v207 dst_sel:DWORD dst_unused:UNUSED_PAD src0_sel:DWORD src1_sel:WORD_1
	v_fma_f16 v199, v199, v206, -v234
	s_waitcnt vmcnt(18)
	v_mul_f16_sdwa v204, v109, v208 dst_sel:DWORD dst_unused:UNUSED_PAD src0_sel:DWORD src1_sel:WORD_1
	v_mul_f16_sdwa v206, v110, v208 dst_sel:DWORD dst_unused:UNUSED_PAD src0_sel:DWORD src1_sel:WORD_1
	v_fmac_f16_e32 v235, v205, v207
	v_fma_f16 v200, v200, v207, -v236
	s_waitcnt lgkmcnt(2)
	v_lshrrev_b32_e32 v205, 16, v104
	v_fma_f16 v207, v110, v208, -v204
	v_fmac_f16_e32 v206, v109, v208
	ds_read2_b32 v[109:110], v149 offset0:152 offset1:233
	v_pack_b32_f16 v199, v199, v233
	v_pack_b32_f16 v200, v200, v235
	s_waitcnt vmcnt(17)
	v_mul_f16_sdwa v233, v104, v209 dst_sel:DWORD dst_unused:UNUSED_PAD src0_sel:DWORD src1_sel:WORD_1
	v_mul_f16_sdwa v204, v205, v209 dst_sel:DWORD dst_unused:UNUSED_PAD src0_sel:DWORD src1_sel:WORD_1
	v_pack_b32_f16 v106, v227, v228
	ds_write2_b32 v187, v199, v200 offset0:63 offset1:144
	v_fmac_f16_e32 v233, v205, v209
	s_waitcnt lgkmcnt(3)
	v_lshrrev_b32_e32 v208, 16, v113
	v_fma_f16 v104, v104, v209, -v204
	v_lshrrev_b32_e32 v209, 16, v105
	s_waitcnt lgkmcnt(2)
	v_lshrrev_b32_e32 v234, 16, v202
	ds_read2_b32 v[199:200], v147 offset0:58 offset1:139
	ds_read2_b32 v[204:205], v131 offset0:92 offset1:173
	s_waitcnt vmcnt(16)
	v_mul_f16_sdwa v235, v113, v210 dst_sel:DWORD dst_unused:UNUSED_PAD src0_sel:DWORD src1_sel:WORD_1
	v_mul_f16_sdwa v236, v208, v210 dst_sel:DWORD dst_unused:UNUSED_PAD src0_sel:DWORD src1_sel:WORD_1
	s_waitcnt vmcnt(15)
	v_mul_f16_sdwa v237, v202, v211 dst_sel:DWORD dst_unused:UNUSED_PAD src0_sel:DWORD src1_sel:WORD_1
	v_mul_f16_sdwa v238, v234, v211 dst_sel:DWORD dst_unused:UNUSED_PAD src0_sel:DWORD src1_sel:WORD_1
	s_waitcnt vmcnt(14)
	v_mul_f16_sdwa v239, v209, v212 dst_sel:DWORD dst_unused:UNUSED_PAD src0_sel:DWORD src1_sel:WORD_1
	v_fmac_f16_e32 v235, v208, v210
	v_fma_f16 v113, v113, v210, -v236
	v_fmac_f16_e32 v237, v234, v211
	v_fma_f16 v202, v202, v211, -v238
	v_fma_f16 v208, v105, v212, -v239
	v_mul_f16_sdwa v105, v105, v212 dst_sel:DWORD dst_unused:UNUSED_PAD src0_sel:DWORD src1_sel:WORD_1
	s_waitcnt lgkmcnt(3)
	v_lshrrev_b32_e32 v210, 16, v109
	v_pack_b32_f16 v113, v113, v235
	v_pack_b32_f16 v202, v202, v237
	v_lshrrev_b32_e32 v211, 16, v110
	v_fmac_f16_e32 v105, v209, v212
	s_waitcnt vmcnt(13)
	v_mul_f16_sdwa v209, v210, v213 dst_sel:DWORD dst_unused:UNUSED_PAD src0_sel:DWORD src1_sel:WORD_1
	v_mul_f16_sdwa v234, v109, v213 dst_sel:DWORD dst_unused:UNUSED_PAD src0_sel:DWORD src1_sel:WORD_1
	ds_write2_b32 v152, v113, v202 offset0:165 offset1:246
	s_waitcnt lgkmcnt(2)
	v_lshrrev_b32_e32 v202, 16, v200
	s_waitcnt vmcnt(12)
	v_mul_f16_sdwa v113, v211, v214 dst_sel:DWORD dst_unused:UNUSED_PAD src0_sel:DWORD src1_sel:WORD_1
	v_fma_f16 v109, v109, v213, -v209
	s_waitcnt lgkmcnt(1)
	v_lshrrev_b32_e32 v209, 16, v204
	v_fmac_f16_e32 v234, v210, v213
	s_waitcnt vmcnt(11)
	v_mul_f16_sdwa v210, v200, v215 dst_sel:DWORD dst_unused:UNUSED_PAD src0_sel:DWORD src1_sel:WORD_1
	v_mul_f16_sdwa v212, v202, v215 dst_sel:DWORD dst_unused:UNUSED_PAD src0_sel:DWORD src1_sel:WORD_1
	s_waitcnt vmcnt(10)
	v_mul_f16_sdwa v213, v204, v216 dst_sel:DWORD dst_unused:UNUSED_PAD src0_sel:DWORD src1_sel:WORD_1
	v_mul_f16_sdwa v235, v209, v216 dst_sel:DWORD dst_unused:UNUSED_PAD src0_sel:DWORD src1_sel:WORD_1
	v_fma_f16 v113, v110, v214, -v113
	v_mul_f16_sdwa v110, v110, v214 dst_sel:DWORD dst_unused:UNUSED_PAD src0_sel:DWORD src1_sel:WORD_1
	v_fmac_f16_e32 v210, v202, v215
	v_fma_f16 v200, v200, v215, -v212
	v_fmac_f16_e32 v213, v209, v216
	v_fma_f16 v202, v204, v216, -v235
	v_lshrrev_b32_e32 v204, 16, v2
	v_lshrrev_b32_e32 v209, 16, v107
	v_fmac_f16_e32 v110, v211, v214
	v_pack_b32_f16 v200, v200, v210
	v_pack_b32_f16 v202, v202, v213
	s_waitcnt vmcnt(7)
	v_mul_f16_sdwa v210, v204, v219 dst_sel:DWORD dst_unused:UNUSED_PAD src0_sel:DWORD src1_sel:WORD_1
	v_mul_f16_sdwa v211, v2, v219 dst_sel:DWORD dst_unused:UNUSED_PAD src0_sel:DWORD src1_sel:WORD_1
	;; [unrolled: 1-line block ×4, first 2 shown]
	ds_write2_b32 v147, v200, v202 offset0:139 offset1:220
	v_fma_f16 v2, v2, v219, -v210
	v_fmac_f16_e32 v211, v204, v219
	v_lshrrev_b32_e32 v200, 16, v108
	v_fma_f16 v107, v107, v218, -v212
	v_fmac_f16_e32 v213, v209, v218
	v_mul_f16_sdwa v204, v108, v217 dst_sel:DWORD dst_unused:UNUSED_PAD src0_sel:DWORD src1_sel:WORD_1
	v_pack_b32_f16 v2, v2, v211
	v_mul_f16_sdwa v202, v200, v217 dst_sel:DWORD dst_unused:UNUSED_PAD src0_sel:DWORD src1_sel:WORD_1
	v_lshrrev_b32_e32 v209, 16, v111
	v_pack_b32_f16 v107, v107, v213
	ds_write2_b32 v148, v3, v2 offset0:81 offset1:162
	ds_write2_b32 v143, v107, v106 offset0:149 offset1:230
	v_fma_f16 v2, v108, v217, -v202
	v_fmac_f16_e32 v204, v200, v217
	s_waitcnt vmcnt(5)
	v_mul_f16_sdwa v3, v209, v221 dst_sel:DWORD dst_unused:UNUSED_PAD src0_sel:DWORD src1_sel:WORD_1
	v_mul_f16_sdwa v106, v111, v221 dst_sel:DWORD dst_unused:UNUSED_PAD src0_sel:DWORD src1_sel:WORD_1
	v_lshrrev_b32_e32 v107, 16, v198
	v_pack_b32_f16 v108, v232, v230
	v_pack_b32_f16 v2, v2, v204
	v_fma_f16 v3, v111, v221, -v3
	v_fmac_f16_e32 v106, v209, v221
	v_mul_f16_sdwa v111, v107, v220 dst_sel:DWORD dst_unused:UNUSED_PAD src0_sel:DWORD src1_sel:WORD_1
	v_mul_f16_sdwa v200, v198, v220 dst_sel:DWORD dst_unused:UNUSED_PAD src0_sel:DWORD src1_sel:WORD_1
	ds_write2_b32 v156, v108, v2 offset0:55 offset1:136
	v_pack_b32_f16 v108, v229, v231
	v_pack_b32_f16 v3, v3, v106
	v_fma_f16 v111, v198, v220, -v111
	v_fmac_f16_e32 v200, v107, v220
	v_lshrrev_b32_e32 v2, 16, v201
	v_pack_b32_f16 v198, v207, v206
	ds_write2_b32 v140, v3, v108 offset0:123 offset1:204
	v_lshrrev_b32_e32 v3, 16, v112
	v_pack_b32_f16 v111, v111, v200
	s_waitcnt vmcnt(2)
	v_mul_f16_sdwa v106, v2, v224 dst_sel:DWORD dst_unused:UNUSED_PAD src0_sel:DWORD src1_sel:WORD_1
	v_mul_f16_sdwa v107, v201, v224 dst_sel:DWORD dst_unused:UNUSED_PAD src0_sel:DWORD src1_sel:WORD_1
	s_waitcnt vmcnt(0)
	v_mul_f16_sdwa v200, v199, v226 dst_sel:DWORD dst_unused:UNUSED_PAD src0_sel:DWORD src1_sel:WORD_1
	v_mul_f16_sdwa v108, v3, v223 dst_sel:DWORD dst_unused:UNUSED_PAD src0_sel:DWORD src1_sel:WORD_1
	ds_write2_b32 v154, v198, v111 offset0:29 offset1:110
	v_mul_f16_sdwa v111, v112, v223 dst_sel:DWORD dst_unused:UNUSED_PAD src0_sel:DWORD src1_sel:WORD_1
	v_fma_f16 v106, v201, v224, -v106
	v_fmac_f16_e32 v107, v2, v224
	v_lshrrev_b32_e32 v2, 16, v203
	v_fma_f16 v108, v112, v223, -v108
	v_mul_f16_sdwa v112, v203, v222 dst_sel:DWORD dst_unused:UNUSED_PAD src0_sel:DWORD src1_sel:WORD_1
	v_fmac_f16_e32 v111, v3, v223
	v_lshrrev_b32_e32 v3, 16, v199
	v_lshrrev_b32_e32 v198, 16, v205
	v_pack_b32_f16 v106, v106, v107
	v_mul_f16_sdwa v107, v2, v222 dst_sel:DWORD dst_unused:UNUSED_PAD src0_sel:DWORD src1_sel:WORD_1
	v_fmac_f16_e32 v112, v2, v222
	v_pack_b32_f16 v2, v208, v105
	v_mul_f16_sdwa v105, v3, v226 dst_sel:DWORD dst_unused:UNUSED_PAD src0_sel:DWORD src1_sel:WORD_1
	v_mul_f16_sdwa v201, v198, v225 dst_sel:DWORD dst_unused:UNUSED_PAD src0_sel:DWORD src1_sel:WORD_1
	;; [unrolled: 1-line block ×3, first 2 shown]
	v_fma_f16 v107, v203, v222, -v107
	v_fmac_f16_e32 v200, v3, v226
	v_fma_f16 v105, v199, v226, -v105
	v_fma_f16 v3, v205, v225, -v201
	v_fmac_f16_e32 v202, v198, v225
	v_pack_b32_f16 v104, v104, v233
	v_pack_b32_f16 v108, v108, v111
	;; [unrolled: 1-line block ×7, first 2 shown]
	ds_write2_b32 v137, v106, v104 offset0:97 offset1:178
	ds_write2_b32 v152, v2, v108 offset0:3 offset1:84
	;; [unrolled: 1-line block ×4, first 2 shown]
	ds_write_b32 v148, v3 offset:9396
	s_waitcnt lgkmcnt(0)
	s_barrier
	buffer_gl0_inv
	ds_read2_b32 v[2:3], v149 offset0:152 offset1:233
	ds_read2_b32 v[198:199], v157 offset0:102 offset1:183
	;; [unrolled: 1-line block ×4, first 2 shown]
	ds_read2_b32 v[204:205], v148 offset1:81
	s_waitcnt lgkmcnt(3)
	v_add_f16_e32 v104, v198, v2
	s_waitcnt lgkmcnt(2)
	v_sub_f16_e32 v105, v200, v2
	s_waitcnt lgkmcnt(1)
	v_sub_f16_e32 v106, v202, v198
	v_sub_f16_sdwa v221, v202, v200 dst_sel:DWORD dst_unused:UNUSED_PAD src0_sel:WORD_1 src1_sel:WORD_1
	v_add_f16_sdwa v207, v202, v200 dst_sel:DWORD dst_unused:UNUSED_PAD src0_sel:WORD_1 src1_sel:WORD_1
	s_waitcnt lgkmcnt(0)
	v_fma_f16 v220, -0.5, v104, v204
	v_lshrrev_b32_e32 v223, 16, v204
	v_add_f16_e32 v206, v106, v105
	ds_read2_b32 v[106:107], v152 offset0:84 offset1:165
	ds_read2_b32 v[108:109], v147 offset0:58 offset1:139
	;; [unrolled: 1-line block ×5, first 2 shown]
	v_add_f16_sdwa v208, v198, v2 dst_sel:DWORD dst_unused:UNUSED_PAD src0_sel:WORD_1 src1_sel:WORD_1
	v_fmamk_f16 v222, v221, 0x3b9c, v220
	v_sub_f16_sdwa v224, v198, v2 dst_sel:DWORD dst_unused:UNUSED_PAD src0_sel:WORD_1 src1_sel:WORD_1
	v_fmac_f16_e32 v220, 0xbb9c, v221
	v_fma_f16 v225, -0.5, v207, v223
	v_fmac_f16_e32 v223, -0.5, v208
	v_sub_f16_sdwa v207, v202, v198 dst_sel:DWORD dst_unused:UNUSED_PAD src0_sel:WORD_1 src1_sel:WORD_1
	v_fmac_f16_e32 v222, 0xb8b4, v224
	v_fmac_f16_e32 v220, 0x38b4, v224
	v_sub_f16_sdwa v208, v200, v2 dst_sel:DWORD dst_unused:UNUSED_PAD src0_sel:WORD_1 src1_sel:WORD_1
	v_sub_f16_e32 v226, v202, v200
	v_sub_f16_e32 v228, v198, v2
	v_fmac_f16_e32 v222, 0x34f2, v206
	v_fmac_f16_e32 v220, 0x34f2, v206
	v_add_f16_e32 v206, v207, v208
	v_fmamk_f16 v227, v226, 0xbb9c, v223
	v_fmac_f16_e32 v223, 0x3b9c, v226
	s_waitcnt lgkmcnt(2)
	v_add_f16_sdwa v207, v111, v107 dst_sel:DWORD dst_unused:UNUSED_PAD src0_sel:WORD_1 src1_sel:WORD_1
	s_waitcnt lgkmcnt(1)
	v_lshrrev_b32_e32 v208, 16, v105
	s_waitcnt lgkmcnt(0)
	v_add_f16_sdwa v209, v113, v109 dst_sel:DWORD dst_unused:UNUSED_PAD src0_sel:WORD_1 src1_sel:WORD_1
	v_add_f16_e32 v211, v113, v109
	v_sub_f16_e32 v230, v111, v107
	v_sub_f16_sdwa v231, v111, v107 dst_sel:DWORD dst_unused:UNUSED_PAD src0_sel:WORD_1 src1_sel:WORD_1
	v_fma_f16 v229, -0.5, v207, v208
	v_fmac_f16_e32 v208, -0.5, v209
	v_fma_f16 v207, -0.5, v211, v105
	v_fmac_f16_e32 v227, 0x38b4, v228
	v_fmac_f16_e32 v223, 0xb8b4, v228
	v_sub_f16_e32 v210, v107, v109
	v_sub_f16_e32 v212, v111, v113
	v_sub_f16_sdwa v209, v111, v113 dst_sel:DWORD dst_unused:UNUSED_PAD src0_sel:WORD_1 src1_sel:WORD_1
	v_sub_f16_sdwa v211, v107, v109 dst_sel:DWORD dst_unused:UNUSED_PAD src0_sel:WORD_1 src1_sel:WORD_1
	v_fmamk_f16 v213, v230, 0xbb9c, v208
	v_fmac_f16_e32 v208, 0x3b9c, v230
	v_sub_f16_e32 v216, v113, v109
	v_fmamk_f16 v214, v231, 0x3b9c, v207
	v_fmac_f16_e32 v207, 0xbb9c, v231
	v_sub_f16_sdwa v232, v113, v109 dst_sel:DWORD dst_unused:UNUSED_PAD src0_sel:WORD_1 src1_sel:WORD_1
	v_add_f16_e32 v209, v209, v211
	v_fmac_f16_e32 v208, 0xb8b4, v216
	v_add_f16_e32 v210, v212, v210
	v_fmac_f16_e32 v213, 0x38b4, v216
	v_fmac_f16_e32 v214, 0xb8b4, v232
	;; [unrolled: 1-line block ×5, first 2 shown]
	v_add_f16_e32 v206, v111, v107
	v_fmac_f16_e32 v208, 0x34f2, v209
	v_fmac_f16_e32 v213, 0x34f2, v209
	;; [unrolled: 1-line block ×4, first 2 shown]
	v_sub_f16_sdwa v209, v113, v111 dst_sel:DWORD dst_unused:UNUSED_PAD src0_sel:WORD_1 src1_sel:WORD_1
	v_sub_f16_sdwa v210, v109, v107 dst_sel:DWORD dst_unused:UNUSED_PAD src0_sel:WORD_1 src1_sel:WORD_1
	v_fma_f16 v237, -0.5, v206, v105
	v_sub_f16_e32 v211, v109, v107
	v_sub_f16_e32 v212, v113, v111
	v_fmamk_f16 v206, v216, 0x3b9c, v229
	v_add_f16_e32 v238, v209, v210
	v_fmamk_f16 v209, v232, 0xbb9c, v237
	v_mul_f16_e32 v235, 0xbb9c, v213
	v_add_f16_e32 v239, v212, v211
	v_add_f16_e32 v212, v202, v200
	v_mul_f16_e32 v236, 0x34f2, v213
	v_fmac_f16_e32 v206, 0x38b4, v230
	v_fmac_f16_e32 v209, 0xb8b4, v231
	;; [unrolled: 1-line block ×3, first 2 shown]
	v_fma_f16 v241, -0.5, v212, v204
	v_fmac_f16_e32 v236, 0x3b9c, v214
	v_sub_f16_e32 v210, v2, v200
	v_sub_f16_e32 v213, v198, v202
	v_fmac_f16_e32 v206, 0x34f2, v238
	v_sub_f16_sdwa v211, v198, v202 dst_sel:DWORD dst_unused:UNUSED_PAD src0_sel:WORD_1 src1_sel:WORD_1
	v_sub_f16_sdwa v214, v2, v200 dst_sel:DWORD dst_unused:UNUSED_PAD src0_sel:WORD_1 src1_sel:WORD_1
	v_fmac_f16_e32 v209, 0x34f2, v239
	v_pk_add_f16 v198, v204, v198
	v_fmamk_f16 v204, v224, 0xbb9c, v241
	v_fmamk_f16 v244, v228, 0x3b9c, v225
	v_mul_f16_e32 v240, 0xb8b4, v206
	v_add_f16_e32 v242, v213, v210
	v_add_f16_e32 v243, v211, v214
	v_pk_add_f16 v105, v105, v113
	v_mul_f16_e32 v113, 0x38b4, v209
	v_pk_add_f16 v198, v198, v202
	v_fmac_f16_e32 v204, 0xb8b4, v221
	v_fmac_f16_e32 v244, 0x38b4, v226
	;; [unrolled: 1-line block ×4, first 2 shown]
	v_pk_add_f16 v105, v105, v111
	v_fmac_f16_e32 v113, 0x3a79, v206
	v_pk_add_f16 v111, v198, v200
	v_fmac_f16_e32 v204, 0x34f2, v242
	v_fmac_f16_e32 v244, 0x34f2, v243
	;; [unrolled: 1-line block ×4, first 2 shown]
	v_pk_add_f16 v105, v105, v107
	v_pk_add_f16 v2, v111, v2
	v_add_f16_e32 v111, v204, v240
	v_add_f16_e32 v198, v244, v113
	v_fmac_f16_e32 v241, 0x3b9c, v224
	v_fmac_f16_e32 v225, 0xbb9c, v228
	v_fmac_f16_e32 v237, 0x38b4, v231
	v_fmac_f16_e32 v229, 0x34f2, v238
	v_mul_f16_e32 v233, 0xbb9c, v208
	v_mul_f16_e32 v234, 0xb4f2, v208
	v_add_f16_e32 v215, v222, v235
	v_add_f16_e32 v107, v227, v236
	v_pk_add_f16 v105, v105, v109
	v_pack_b32_f16 v209, v111, v198
	v_fmac_f16_e32 v241, 0x38b4, v221
	v_fmac_f16_e32 v225, 0xb8b4, v226
	;; [unrolled: 1-line block ×3, first 2 shown]
	v_mul_f16_e32 v109, 0xb8b4, v229
	v_mul_f16_e32 v111, 0xba79, v229
	v_fmac_f16_e32 v233, 0xb4f2, v207
	v_fmac_f16_e32 v234, 0x3b9c, v207
	v_pack_b32_f16 v206, v215, v107
	v_sub_f16_e32 v107, v222, v235
	v_sub_f16_e32 v198, v227, v236
	v_fmac_f16_e32 v241, 0x34f2, v242
	v_fmac_f16_e32 v225, 0x34f2, v243
	;; [unrolled: 1-line block ×4, first 2 shown]
	v_add_f16_e32 v207, v220, v233
	v_add_f16_e32 v208, v223, v234
	v_sub_f16_e32 v200, v204, v240
	v_sub_f16_e32 v113, v244, v113
	v_pack_b32_f16 v221, v107, v198
	v_add_f16_e32 v107, v241, v109
	v_add_f16_e32 v198, v225, v111
	v_sub_f16_e32 v202, v220, v233
	v_sub_f16_e32 v109, v241, v109
	;; [unrolled: 1-line block ×4, first 2 shown]
	v_pack_b32_f16 v207, v207, v208
	v_pk_add_f16 v208, v2, v105
	v_pk_add_f16 v223, v2, v105 neg_lo:[0,1] neg_hi:[0,1]
	v_pk_add_f16 v2, v205, v199
	v_pack_b32_f16 v220, v200, v113
	v_pack_b32_f16 v222, v107, v198
	;; [unrolled: 1-line block ×4, first 2 shown]
	ds_read2_b32 v[210:211], v143 offset0:68 offset1:149
	ds_read2_b32 v[212:213], v140 offset0:42 offset1:123
	;; [unrolled: 1-line block ×5, first 2 shown]
	s_waitcnt lgkmcnt(0)
	s_barrier
	buffer_gl0_inv
	ds_write2_b64 v159, v[208:209], v[206:207] offset1:1
	ds_write2_b64 v159, v[222:223], v[220:221] offset0:2 offset1:3
	ds_write_b64 v159, v[224:225] offset:32
	v_pk_add_f16 v2, v2, v203
	v_add_f16_e32 v105, v203, v201
	v_sub_f16_sdwa v107, v203, v201 dst_sel:DWORD dst_unused:UNUSED_PAD src0_sel:WORD_1 src1_sel:WORD_1
	v_sub_f16_e32 v109, v199, v203
	v_sub_f16_e32 v111, v203, v199
	v_add_f16_sdwa v113, v203, v201 dst_sel:DWORD dst_unused:UNUSED_PAD src0_sel:WORD_1 src1_sel:WORD_1
	v_sub_f16_e32 v159, v203, v201
	v_sub_f16_sdwa v198, v199, v203 dst_sel:DWORD dst_unused:UNUSED_PAD src0_sel:WORD_1 src1_sel:WORD_1
	v_sub_f16_sdwa v200, v203, v199 dst_sel:DWORD dst_unused:UNUSED_PAD src0_sel:WORD_1 src1_sel:WORD_1
	v_add_f16_e32 v203, v199, v3
	v_sub_f16_sdwa v202, v199, v3 dst_sel:DWORD dst_unused:UNUSED_PAD src0_sel:WORD_1 src1_sel:WORD_1
	v_pk_add_f16 v2, v2, v201
	v_sub_f16_e32 v207, v201, v3
	v_sub_f16_e32 v204, v199, v3
	v_fma_f16 v203, -0.5, v203, v205
	v_add_f16_sdwa v199, v199, v3 dst_sel:DWORD dst_unused:UNUSED_PAD src0_sel:WORD_1 src1_sel:WORD_1
	v_sub_f16_e32 v206, v3, v201
	v_sub_f16_sdwa v208, v3, v201 dst_sel:DWORD dst_unused:UNUSED_PAD src0_sel:WORD_1 src1_sel:WORD_1
	v_lshrrev_b32_e32 v209, 16, v205
	v_fmamk_f16 v221, v107, 0x3b9c, v203
	v_fmac_f16_e32 v203, 0xbb9c, v107
	v_sub_f16_sdwa v201, v201, v3 dst_sel:DWORD dst_unused:UNUSED_PAD src0_sel:WORD_1 src1_sel:WORD_1
	v_pk_add_f16 v220, v2, v3
	v_add_f16_e32 v2, v111, v207
	v_fmac_f16_e32 v221, 0xb8b4, v202
	v_fmac_f16_e32 v203, 0x38b4, v202
	v_fma_f16 v113, -0.5, v113, v209
	v_fmac_f16_e32 v209, -0.5, v199
	v_add_f16_sdwa v3, v214, v216 dst_sel:DWORD dst_unused:UNUSED_PAD src0_sel:WORD_1 src1_sel:WORD_1
	v_fmac_f16_e32 v221, 0x34f2, v2
	v_fmac_f16_e32 v203, 0x34f2, v2
	v_add_f16_e32 v2, v200, v201
	v_lshrrev_b32_e32 v199, 16, v210
	v_add_f16_sdwa v200, v212, v218 dst_sel:DWORD dst_unused:UNUSED_PAD src0_sel:WORD_1 src1_sel:WORD_1
	v_fma_f16 v105, -0.5, v105, v205
	v_add_f16_e32 v205, v212, v218
	v_fmamk_f16 v111, v159, 0xbb9c, v209
	v_fma_f16 v222, -0.5, v3, v199
	v_fmac_f16_e32 v199, -0.5, v200
	v_sub_f16_e32 v200, v214, v216
	v_fmac_f16_e32 v209, 0x3b9c, v159
	v_fma_f16 v3, -0.5, v205, v210
	v_sub_f16_sdwa v205, v214, v216 dst_sel:DWORD dst_unused:UNUSED_PAD src0_sel:WORD_1 src1_sel:WORD_1
	v_sub_f16_sdwa v223, v214, v212 dst_sel:DWORD dst_unused:UNUSED_PAD src0_sel:WORD_1 src1_sel:WORD_1
	;; [unrolled: 1-line block ×3, first 2 shown]
	v_fmamk_f16 v225, v200, 0xbb9c, v199
	v_fmac_f16_e32 v199, 0x3b9c, v200
	v_sub_f16_e32 v226, v212, v218
	v_fmac_f16_e32 v111, 0x38b4, v204
	v_fmac_f16_e32 v209, 0xb8b4, v204
	v_sub_f16_e32 v201, v216, v218
	v_sub_f16_e32 v207, v214, v212
	v_fmamk_f16 v227, v205, 0x3b9c, v3
	v_fmac_f16_e32 v3, 0xbb9c, v205
	v_sub_f16_sdwa v228, v212, v218 dst_sel:DWORD dst_unused:UNUSED_PAD src0_sel:WORD_1 src1_sel:WORD_1
	v_add_f16_e32 v223, v223, v224
	v_fmac_f16_e32 v199, 0xb8b4, v226
	v_fmac_f16_e32 v225, 0x38b4, v226
	;; [unrolled: 1-line block ×3, first 2 shown]
	v_add_f16_e32 v201, v207, v201
	v_fmac_f16_e32 v3, 0x38b4, v228
	v_fmac_f16_e32 v199, 0x34f2, v223
	;; [unrolled: 1-line block ×5, first 2 shown]
	v_add_f16_e32 v2, v214, v216
	v_fmac_f16_e32 v3, 0x34f2, v201
	v_mul_f16_e32 v207, 0xbb9c, v199
	v_fmac_f16_e32 v227, 0x34f2, v201
	v_mul_f16_e32 v201, 0xb4f2, v199
	v_mul_f16_e32 v223, 0xbb9c, v225
	;; [unrolled: 1-line block ×3, first 2 shown]
	v_fma_f16 v225, -0.5, v2, v210
	v_fmac_f16_e32 v207, 0xb4f2, v3
	v_fmac_f16_e32 v201, 0x3b9c, v3
	;; [unrolled: 1-line block ×4, first 2 shown]
	v_sub_f16_e32 v3, v218, v216
	v_sub_f16_e32 v2, v212, v214
	v_sub_f16_sdwa v199, v212, v214 dst_sel:DWORD dst_unused:UNUSED_PAD src0_sel:WORD_1 src1_sel:WORD_1
	v_sub_f16_sdwa v227, v218, v216 dst_sel:DWORD dst_unused:UNUSED_PAD src0_sel:WORD_1 src1_sel:WORD_1
	v_fmamk_f16 v229, v226, 0x3b9c, v222
	v_fmamk_f16 v230, v228, 0xbb9c, v225
	v_add_f16_e32 v232, v2, v3
	v_add_f16_e32 v109, v109, v206
	v_add_f16_e32 v227, v199, v227
	v_fmac_f16_e32 v229, 0x38b4, v200
	v_fmac_f16_e32 v230, 0xb8b4, v205
	v_add_f16_e32 v206, v198, v208
	v_fmamk_f16 v208, v202, 0xbb9c, v105
	v_fmamk_f16 v233, v204, 0x3b9c, v113
	v_fmac_f16_e32 v229, 0x34f2, v227
	v_fmac_f16_e32 v230, 0x34f2, v232
	v_pk_add_f16 v3, v210, v212
	v_fmac_f16_e32 v222, 0xbb9c, v226
	v_fmac_f16_e32 v208, 0xb8b4, v107
	v_mul_f16_e32 v210, 0xb8b4, v229
	v_mul_f16_e32 v212, 0x38b4, v230
	v_fmac_f16_e32 v233, 0x38b4, v159
	v_pk_add_f16 v3, v3, v214
	v_fmac_f16_e32 v225, 0x3b9c, v228
	v_fmac_f16_e32 v222, 0xb8b4, v200
	;; [unrolled: 1-line block ×6, first 2 shown]
	v_pk_add_f16 v3, v3, v216
	v_fmac_f16_e32 v105, 0x3b9c, v202
	v_fmac_f16_e32 v113, 0xbb9c, v204
	;; [unrolled: 1-line block ×4, first 2 shown]
	v_add_f16_e32 v231, v203, v207
	v_add_f16_e32 v2, v209, v201
	;; [unrolled: 1-line block ×6, first 2 shown]
	v_pk_add_f16 v218, v3, v218
	v_fmac_f16_e32 v105, 0x38b4, v107
	v_fmac_f16_e32 v113, 0xb8b4, v159
	;; [unrolled: 1-line block ×3, first 2 shown]
	v_mul_f16_e32 v107, 0xb8b4, v222
	v_mul_f16_e32 v159, 0xba79, v222
	v_pack_b32_f16 v3, v231, v2
	v_pack_b32_f16 v2, v198, v199
	;; [unrolled: 1-line block ×3, first 2 shown]
	v_pk_add_f16 v198, v220, v218
	v_sub_f16_e32 v200, v221, v223
	v_sub_f16_e32 v111, v111, v224
	v_fmac_f16_e32 v105, 0x34f2, v109
	v_fmac_f16_e32 v113, 0x34f2, v206
	;; [unrolled: 1-line block ×4, first 2 shown]
	ds_write2_b64 v171, v[198:199], v[2:3] offset1:1
	v_pack_b32_f16 v3, v200, v111
	v_add_f16_e32 v205, v112, v108
	v_add_f16_e32 v109, v105, v107
	;; [unrolled: 1-line block ×3, first 2 shown]
	v_sub_f16_e32 v105, v105, v107
	v_sub_f16_e32 v107, v113, v159
	v_pk_add_f16 v159, v104, v112
	v_sub_f16_e32 v208, v208, v210
	v_sub_f16_e32 v202, v233, v212
	;; [unrolled: 1-line block ×4, first 2 shown]
	v_pack_b32_f16 v198, v109, v111
	v_pack_b32_f16 v201, v105, v107
	v_pk_add_f16 v105, v159, v110
	v_sub_f16_sdwa v109, v110, v106 dst_sel:DWORD dst_unused:UNUSED_PAD src0_sel:WORD_1 src1_sel:WORD_1
	v_fma_f16 v205, -0.5, v205, v104
	v_pack_b32_f16 v2, v208, v202
	v_pack_b32_f16 v200, v200, v113
	v_add_f16_e32 v107, v110, v106
	v_sub_f16_e32 v113, v110, v112
	v_sub_f16_sdwa v204, v112, v108 dst_sel:DWORD dst_unused:UNUSED_PAD src0_sel:WORD_1 src1_sel:WORD_1
	v_pk_add_f16 v105, v105, v106
	v_pk_add_f16 v208, v211, v213
	v_sub_f16_e32 v209, v106, v108
	v_fmamk_f16 v227, v109, 0x3b9c, v205
	v_fmac_f16_e32 v205, 0xbb9c, v109
	v_pk_add_f16 v199, v220, v218 neg_lo:[0,1] neg_hi:[0,1]
	v_sub_f16_e32 v111, v112, v110
	v_add_f16_sdwa v159, v110, v106 dst_sel:DWORD dst_unused:UNUSED_PAD src0_sel:WORD_1 src1_sel:WORD_1
	v_sub_f16_e32 v202, v110, v106
	v_sub_f16_sdwa v203, v112, v110 dst_sel:DWORD dst_unused:UNUSED_PAD src0_sel:WORD_1 src1_sel:WORD_1
	v_sub_f16_sdwa v110, v110, v112 dst_sel:DWORD dst_unused:UNUSED_PAD src0_sel:WORD_1 src1_sel:WORD_1
	v_sub_f16_e32 v206, v112, v108
	v_add_f16_sdwa v112, v112, v108 dst_sel:DWORD dst_unused:UNUSED_PAD src0_sel:WORD_1 src1_sel:WORD_1
	v_sub_f16_e32 v207, v108, v106
	v_sub_f16_sdwa v210, v108, v106 dst_sel:DWORD dst_unused:UNUSED_PAD src0_sel:WORD_1 src1_sel:WORD_1
	v_sub_f16_sdwa v106, v106, v108 dst_sel:DWORD dst_unused:UNUSED_PAD src0_sel:WORD_1 src1_sel:WORD_1
	v_pk_add_f16 v212, v105, v108
	v_pk_add_f16 v105, v208, v215
	v_add_f16_e32 v108, v215, v217
	v_sub_f16_sdwa v208, v215, v217 dst_sel:DWORD dst_unused:UNUSED_PAD src0_sel:WORD_1 src1_sel:WORD_1
	v_sub_f16_e32 v214, v213, v215
	v_sub_f16_e32 v216, v215, v213
	v_add_f16_sdwa v218, v215, v217 dst_sel:DWORD dst_unused:UNUSED_PAD src0_sel:WORD_1 src1_sel:WORD_1
	v_sub_f16_e32 v220, v215, v217
	v_sub_f16_sdwa v221, v213, v215 dst_sel:DWORD dst_unused:UNUSED_PAD src0_sel:WORD_1 src1_sel:WORD_1
	v_sub_f16_sdwa v215, v215, v213 dst_sel:DWORD dst_unused:UNUSED_PAD src0_sel:WORD_1 src1_sel:WORD_1
	v_sub_f16_sdwa v222, v213, v219 dst_sel:DWORD dst_unused:UNUSED_PAD src0_sel:WORD_1 src1_sel:WORD_1
	v_add_f16_e32 v223, v213, v219
	v_sub_f16_e32 v224, v213, v219
	v_add_f16_sdwa v213, v213, v219 dst_sel:DWORD dst_unused:UNUSED_PAD src0_sel:WORD_1 src1_sel:WORD_1
	v_add_f16_e32 v113, v113, v209
	v_fmac_f16_e32 v227, 0xb8b4, v204
	v_fmac_f16_e32 v205, 0x38b4, v204
	v_lshrrev_b32_e32 v209, 16, v104
	v_fma_f16 v229, -0.5, v107, v104
	v_lshrrev_b32_e32 v104, 16, v211
	v_fmac_f16_e32 v227, 0x34f2, v113
	v_fmac_f16_e32 v205, 0x34f2, v113
	v_fma_f16 v113, -0.5, v159, v209
	v_fmac_f16_e32 v209, -0.5, v112
	v_fma_f16 v112, -0.5, v218, v104
	v_fmac_f16_e32 v104, -0.5, v213
	v_pk_add_f16 v105, v105, v217
	v_sub_f16_e32 v225, v219, v217
	v_sub_f16_e32 v226, v217, v219
	v_sub_f16_sdwa v228, v219, v217 dst_sel:DWORD dst_unused:UNUSED_PAD src0_sel:WORD_1 src1_sel:WORD_1
	v_sub_f16_sdwa v217, v217, v219 dst_sel:DWORD dst_unused:UNUSED_PAD src0_sel:WORD_1 src1_sel:WORD_1
	v_fmamk_f16 v159, v220, 0xbb9c, v104
	v_fmac_f16_e32 v104, 0x3b9c, v220
	v_add_f16_e32 v106, v110, v106
	v_fma_f16 v107, -0.5, v223, v211
	v_fmamk_f16 v110, v202, 0xbb9c, v209
	v_fmac_f16_e32 v209, 0x3b9c, v202
	v_add_f16_e32 v213, v215, v217
	v_fmac_f16_e32 v104, 0xb8b4, v224
	v_fma_f16 v108, -0.5, v108, v211
	v_fmamk_f16 v211, v208, 0x3b9c, v107
	v_fmac_f16_e32 v107, 0xbb9c, v208
	v_fmac_f16_e32 v110, 0x38b4, v206
	v_fmac_f16_e32 v209, 0xb8b4, v206
	v_fmac_f16_e32 v104, 0x34f2, v213
	v_fmac_f16_e32 v159, 0x38b4, v224
	v_add_f16_e32 v215, v216, v226
	v_fmac_f16_e32 v107, 0x38b4, v222
	v_fmac_f16_e32 v110, 0x34f2, v106
	;; [unrolled: 1-line block ×3, first 2 shown]
	v_mul_f16_e32 v216, 0xbb9c, v104
	v_mul_f16_e32 v217, 0xb4f2, v104
	v_fmac_f16_e32 v159, 0x34f2, v213
	v_fmac_f16_e32 v209, 0x34f2, v106
	v_fmamk_f16 v104, v224, 0x3b9c, v112
	v_fmamk_f16 v106, v222, 0xbb9c, v108
	v_fmac_f16_e32 v112, 0xbb9c, v224
	v_fmac_f16_e32 v107, 0x34f2, v215
	;; [unrolled: 1-line block ×3, first 2 shown]
	v_mul_f16_e32 v213, 0xbb9c, v159
	v_mul_f16_e32 v159, 0x34f2, v159
	v_add_f16_e32 v214, v214, v225
	v_add_f16_e32 v215, v221, v228
	v_fmac_f16_e32 v104, 0x38b4, v220
	v_fmac_f16_e32 v106, 0xb8b4, v208
	;; [unrolled: 1-line block ×6, first 2 shown]
	v_add_f16_e32 v111, v111, v207
	v_fmac_f16_e32 v104, 0x34f2, v215
	v_fmac_f16_e32 v106, 0x34f2, v214
	v_fmamk_f16 v207, v204, 0xbb9c, v229
	v_fmamk_f16 v211, v206, 0x3b9c, v113
	v_fmac_f16_e32 v229, 0x3b9c, v204
	v_fmac_f16_e32 v113, 0xbb9c, v206
	;; [unrolled: 1-line block ×4, first 2 shown]
	v_add_f16_e32 v203, v203, v210
	v_mul_f16_e32 v210, 0xb8b4, v104
	v_mul_f16_e32 v218, 0x38b4, v106
	v_fmac_f16_e32 v207, 0xb8b4, v109
	v_fmac_f16_e32 v211, 0x38b4, v202
	;; [unrolled: 1-line block ×5, first 2 shown]
	v_mul_f16_e32 v202, 0xb8b4, v112
	v_mul_f16_e32 v112, 0xba79, v112
	v_fmac_f16_e32 v216, 0xb4f2, v107
	v_fmac_f16_e32 v217, 0x3b9c, v107
	;; [unrolled: 1-line block ×10, first 2 shown]
	v_sub_f16_e32 v204, v227, v213
	v_sub_f16_e32 v109, v110, v159
	v_add_f16_e32 v107, v205, v216
	v_add_f16_e32 v104, v209, v217
	;; [unrolled: 1-line block ×6, first 2 shown]
	v_pk_add_f16 v219, v105, v219
	v_sub_f16_e32 v108, v207, v210
	v_sub_f16_e32 v110, v211, v218
	v_add_f16_e32 v159, v229, v202
	v_add_f16_e32 v203, v113, v112
	v_pack_b32_f16 v109, v204, v109
	v_sub_f16_e32 v204, v205, v216
	v_sub_f16_e32 v202, v229, v202
	;; [unrolled: 1-line block ×4, first 2 shown]
	v_pack_b32_f16 v105, v107, v104
	v_pack_b32_f16 v104, v106, v221
	;; [unrolled: 1-line block ×3, first 2 shown]
	v_pk_add_f16 v106, v212, v219
	v_pack_b32_f16 v108, v108, v110
	v_pk_add_f16 v111, v212, v219 neg_lo:[0,1] neg_hi:[0,1]
	v_pack_b32_f16 v110, v159, v203
	v_pack_b32_f16 v113, v202, v112
	;; [unrolled: 1-line block ×3, first 2 shown]
	ds_write2_b64 v171, v[198:199], v[2:3] offset0:2 offset1:3
	ds_write_b64 v171, v[200:201] offset:32
	ds_write2_b64 v176, v[106:107], v[104:105] offset1:1
	ds_write2_b64 v176, v[110:111], v[108:109] offset0:2 offset1:3
	ds_write_b64 v176, v[112:113] offset:32
	s_waitcnt lgkmcnt(0)
	s_barrier
	buffer_gl0_inv
	ds_read2_b32 v[2:3], v140 offset0:42 offset1:123
	ds_read2_b32 v[104:105], v152 offset0:84 offset1:165
	;; [unrolled: 1-line block ×3, first 2 shown]
	s_waitcnt lgkmcnt(2)
	v_lshrrev_b32_e32 v110, 16, v2
	v_mul_f16_sdwa v108, v14, v2 dst_sel:DWORD dst_unused:UNUSED_PAD src0_sel:WORD_1 src1_sel:DWORD
	s_waitcnt lgkmcnt(1)
	v_lshrrev_b32_e32 v112, 16, v104
	v_lshrrev_b32_e32 v113, 16, v3
	;; [unrolled: 1-line block ×3, first 2 shown]
	v_mul_f16_sdwa v159, v15, v104 dst_sel:DWORD dst_unused:UNUSED_PAD src0_sel:WORD_1 src1_sel:DWORD
	v_fma_f16 v111, v14, v110, -v108
	ds_read2_b32 v[108:109], v134 offset0:118 offset1:199
	v_mul_f16_sdwa v110, v14, v110 dst_sel:DWORD dst_unused:UNUSED_PAD src0_sel:WORD_1 src1_sel:DWORD
	v_mul_f16_sdwa v171, v15, v112 dst_sel:DWORD dst_unused:UNUSED_PAD src0_sel:WORD_1 src1_sel:DWORD
	;; [unrolled: 1-line block ×3, first 2 shown]
	v_fma_f16 v112, v15, v112, -v159
	s_waitcnt lgkmcnt(1)
	v_lshrrev_b32_e32 v199, 16, v107
	v_fmac_f16_e32 v110, v14, v2
	v_fmac_f16_e32 v171, v15, v104
	v_mul_f16_sdwa v104, v13, v198 dst_sel:DWORD dst_unused:UNUSED_PAD src0_sel:WORD_1 src1_sel:DWORD
	v_mul_f16_sdwa v2, v12, v3 dst_sel:DWORD dst_unused:UNUSED_PAD src0_sel:WORD_1 src1_sel:DWORD
	v_fmac_f16_e32 v176, v12, v3
	v_mul_f16_sdwa v14, v13, v105 dst_sel:DWORD dst_unused:UNUSED_PAD src0_sel:WORD_1 src1_sel:DWORD
	v_lshrrev_b32_e32 v15, 16, v106
	v_fmac_f16_e32 v104, v13, v105
	v_fma_f16 v105, v12, v113, -v2
	ds_read2_b32 v[2:3], v154 offset0:110 offset1:191
	v_fma_f16 v113, v13, v198, -v14
	ds_read2_b32 v[12:13], v149 offset0:152 offset1:233
	v_mul_f16_sdwa v159, v102, v106 dst_sel:DWORD dst_unused:UNUSED_PAD src0_sel:WORD_1 src1_sel:DWORD
	v_mul_f16_sdwa v201, v102, v15 dst_sel:DWORD dst_unused:UNUSED_PAD src0_sel:WORD_1 src1_sel:DWORD
	s_waitcnt lgkmcnt(2)
	v_lshrrev_b32_e32 v14, 16, v108
	v_mul_f16_sdwa v198, v103, v108 dst_sel:DWORD dst_unused:UNUSED_PAD src0_sel:WORD_1 src1_sel:DWORD
	v_lshrrev_b32_e32 v200, 16, v109
	v_mul_f16_sdwa v203, v100, v199 dst_sel:DWORD dst_unused:UNUSED_PAD src0_sel:WORD_1 src1_sel:DWORD
	v_fma_f16 v159, v102, v15, -v159
	v_mul_f16_sdwa v202, v103, v14 dst_sel:DWORD dst_unused:UNUSED_PAD src0_sel:WORD_1 src1_sel:DWORD
	v_fma_f16 v198, v103, v14, -v198
	v_mul_f16_sdwa v14, v100, v107 dst_sel:DWORD dst_unused:UNUSED_PAD src0_sel:WORD_1 src1_sel:DWORD
	v_mul_f16_sdwa v204, v101, v200 dst_sel:DWORD dst_unused:UNUSED_PAD src0_sel:WORD_1 src1_sel:DWORD
	v_fmac_f16_e32 v201, v102, v106
	v_fmac_f16_e32 v202, v103, v108
	;; [unrolled: 1-line block ×3, first 2 shown]
	v_mul_f16_sdwa v102, v101, v109 dst_sel:DWORD dst_unused:UNUSED_PAD src0_sel:WORD_1 src1_sel:DWORD
	v_fma_f16 v103, v100, v199, -v14
	ds_read2_b32 v[14:15], v137 offset0:16 offset1:97
	s_waitcnt lgkmcnt(2)
	v_lshrrev_b32_e32 v106, 16, v2
	v_mul_f16_sdwa v107, v98, v2 dst_sel:DWORD dst_unused:UNUSED_PAD src0_sel:WORD_1 src1_sel:DWORD
	v_fmac_f16_e32 v204, v101, v109
	v_fma_f16 v102, v101, v200, -v102
	ds_read2_b32 v[100:101], v147 offset0:58 offset1:139
	s_waitcnt lgkmcnt(2)
	v_lshrrev_b32_e32 v108, 16, v12
	v_mul_f16_sdwa v109, v99, v12 dst_sel:DWORD dst_unused:UNUSED_PAD src0_sel:WORD_1 src1_sel:DWORD
	v_fma_f16 v107, v98, v106, -v107
	v_lshrrev_b32_e32 v199, 16, v3
	v_lshrrev_b32_e32 v200, 16, v13
	v_mul_f16_sdwa v106, v98, v106 dst_sel:DWORD dst_unused:UNUSED_PAD src0_sel:WORD_1 src1_sel:DWORD
	v_fma_f16 v109, v99, v108, -v109
	v_mul_f16_sdwa v108, v99, v108 dst_sel:DWORD dst_unused:UNUSED_PAD src0_sel:WORD_1 src1_sel:DWORD
	v_mul_f16_sdwa v205, v96, v199 dst_sel:DWORD dst_unused:UNUSED_PAD src0_sel:WORD_1 src1_sel:DWORD
	;; [unrolled: 1-line block ×3, first 2 shown]
	v_fmac_f16_e32 v106, v98, v2
	v_mul_f16_sdwa v2, v96, v3 dst_sel:DWORD dst_unused:UNUSED_PAD src0_sel:WORD_1 src1_sel:DWORD
	v_fmac_f16_e32 v108, v99, v12
	v_fmac_f16_e32 v205, v96, v3
	;; [unrolled: 1-line block ×3, first 2 shown]
	v_mul_f16_sdwa v98, v97, v13 dst_sel:DWORD dst_unused:UNUSED_PAD src0_sel:WORD_1 src1_sel:DWORD
	v_fma_f16 v99, v96, v199, -v2
	ds_read2_b32 v[2:3], v153 offset0:50 offset1:131
	ds_read2_b32 v[12:13], v131 offset0:92 offset1:173
	s_waitcnt lgkmcnt(3)
	v_lshrrev_b32_e32 v96, 16, v14
	v_mul_f16_sdwa v199, v90, v14 dst_sel:DWORD dst_unused:UNUSED_PAD src0_sel:WORD_1 src1_sel:DWORD
	s_waitcnt lgkmcnt(2)
	v_lshrrev_b32_e32 v207, 16, v100
	v_mul_f16_sdwa v208, v91, v100 dst_sel:DWORD dst_unused:UNUSED_PAD src0_sel:WORD_1 src1_sel:DWORD
	v_fma_f16 v98, v97, v200, -v98
	v_mul_f16_sdwa v200, v90, v96 dst_sel:DWORD dst_unused:UNUSED_PAD src0_sel:WORD_1 src1_sel:DWORD
	v_fma_f16 v199, v90, v96, -v199
	v_lshrrev_b32_e32 v209, 16, v15
	ds_read2_b32 v[96:97], v148 offset1:81
	v_fma_f16 v208, v91, v207, -v208
	v_lshrrev_b32_e32 v210, 16, v101
	v_mul_f16_sdwa v207, v91, v207 dst_sel:DWORD dst_unused:UNUSED_PAD src0_sel:WORD_1 src1_sel:DWORD
	v_fmac_f16_e32 v200, v90, v14
	v_mul_f16_sdwa v90, v94, v209 dst_sel:DWORD dst_unused:UNUSED_PAD src0_sel:WORD_1 src1_sel:DWORD
	v_mul_f16_sdwa v14, v94, v15 dst_sel:DWORD dst_unused:UNUSED_PAD src0_sel:WORD_1 src1_sel:DWORD
	;; [unrolled: 1-line block ×4, first 2 shown]
	v_fmac_f16_e32 v207, v91, v100
	v_fmac_f16_e32 v90, v94, v15
	v_fma_f16 v91, v94, v209, -v14
	s_waitcnt lgkmcnt(2)
	v_lshrrev_b32_e32 v14, 16, v2
	s_waitcnt lgkmcnt(1)
	v_lshrrev_b32_e32 v15, 16, v12
	v_fmac_f16_e32 v211, v95, v101
	v_fma_f16 v94, v95, v210, -v212
	v_mul_f16_sdwa v95, v92, v2 dst_sel:DWORD dst_unused:UNUSED_PAD src0_sel:WORD_1 src1_sel:DWORD
	v_mul_f16_sdwa v209, v92, v14 dst_sel:DWORD dst_unused:UNUSED_PAD src0_sel:WORD_1 src1_sel:DWORD
	;; [unrolled: 1-line block ×3, first 2 shown]
	v_lshrrev_b32_e32 v100, 16, v3
	v_mul_f16_sdwa v101, v93, v12 dst_sel:DWORD dst_unused:UNUSED_PAD src0_sel:WORD_1 src1_sel:DWORD
	v_fma_f16 v95, v92, v14, -v95
	v_fmac_f16_e32 v209, v92, v2
	v_fmac_f16_e32 v210, v93, v12
	s_waitcnt lgkmcnt(0)
	v_lshrrev_b32_e32 v92, 16, v96
	v_add_f16_e32 v12, v111, v112
	v_mul_f16_sdwa v212, v88, v100 dst_sel:DWORD dst_unused:UNUSED_PAD src0_sel:WORD_1 src1_sel:DWORD
	v_fma_f16 v101, v93, v15, -v101
	v_lshrrev_b32_e32 v2, 16, v13
	v_add_f16_e32 v14, v110, v171
	v_add_f16_e32 v15, v92, v111
	v_fmac_f16_e32 v92, -0.5, v12
	v_add_f16_e32 v12, v96, v110
	v_fmac_f16_e32 v212, v88, v3
	v_mul_f16_sdwa v3, v88, v3 dst_sel:DWORD dst_unused:UNUSED_PAD src0_sel:WORD_1 src1_sel:DWORD
	v_mul_f16_sdwa v93, v89, v2 dst_sel:DWORD dst_unused:UNUSED_PAD src0_sel:WORD_1 src1_sel:DWORD
	v_fma_f16 v96, -0.5, v14, v96
	v_mul_f16_sdwa v14, v89, v13 dst_sel:DWORD dst_unused:UNUSED_PAD src0_sel:WORD_1 src1_sel:DWORD
	v_add_f16_e32 v15, v15, v112
	v_add_f16_e32 v12, v12, v171
	v_sub_f16_e32 v111, v111, v112
	v_sub_f16_e32 v110, v110, v171
	v_fmac_f16_e32 v93, v89, v13
	v_fma_f16 v100, v88, v100, -v3
	v_fma_f16 v213, v89, v2, -v14
	v_pack_b32_f16 v214, v12, v15
	ds_read2_b32 v[2:3], v148 offset0:162 offset1:243
	ds_read2_b32 v[12:13], v143 offset0:68 offset1:149
	;; [unrolled: 1-line block ×4, first 2 shown]
	v_fmamk_f16 v112, v111, 0xbaee, v96
	v_fmamk_f16 v171, v110, 0x3aee, v92
	v_fmac_f16_e32 v96, 0x3aee, v111
	v_add_f16_e32 v111, v176, v104
	v_fmac_f16_e32 v92, 0xbaee, v110
	v_lshrrev_b32_e32 v110, 16, v97
	v_pack_b32_f16 v112, v112, v171
	v_add_f16_e32 v171, v105, v113
	v_add_f16_e32 v215, v97, v176
	v_fmac_f16_e32 v97, -0.5, v111
	v_sub_f16_e32 v111, v105, v113
	v_add_f16_e32 v105, v110, v105
	v_fmac_f16_e32 v110, -0.5, v171
	v_sub_f16_e32 v171, v176, v104
	s_waitcnt lgkmcnt(0)
	s_barrier
	buffer_gl0_inv
	v_pack_b32_f16 v92, v96, v92
	v_fmamk_f16 v96, v111, 0xbaee, v97
	v_fmac_f16_e32 v97, 0x3aee, v111
	v_fmamk_f16 v111, v171, 0x3aee, v110
	v_fmac_f16_e32 v110, 0xbaee, v171
	v_add_f16_e32 v104, v215, v104
	v_add_f16_e32 v105, v105, v113
	ds_write2_b32 v189, v214, v112 offset1:10
	v_lshrrev_b32_e32 v112, 16, v2
	ds_write_b32 v189, v92 offset:80
	v_pack_b32_f16 v92, v97, v110
	v_pack_b32_f16 v97, v104, v105
	v_add_f16_e32 v105, v159, v198
	v_add_f16_e32 v104, v112, v159
	;; [unrolled: 1-line block ×3, first 2 shown]
	v_pack_b32_f16 v96, v96, v111
	v_add_f16_e32 v111, v201, v202
	v_fmac_f16_e32 v112, -0.5, v105
	v_add_f16_e32 v104, v104, v198
	v_add_f16_e32 v105, v110, v202
	v_sub_f16_e32 v110, v201, v202
	v_sub_f16_e32 v113, v159, v198
	v_fma_f16 v2, -0.5, v111, v2
	ds_write2_b32 v193, v97, v96 offset1:10
	ds_write_b32 v193, v92 offset:80
	v_pack_b32_f16 v92, v105, v104
	v_fmamk_f16 v97, v110, 0x3aee, v112
	v_add_f16_e32 v104, v203, v204
	v_fmac_f16_e32 v112, 0xbaee, v110
	v_lshrrev_b32_e32 v105, 16, v3
	v_add_f16_e32 v110, v103, v102
	v_fmamk_f16 v96, v113, 0xbaee, v2
	v_add_f16_e32 v111, v3, v203
	v_fmac_f16_e32 v3, -0.5, v104
	v_sub_f16_e32 v104, v103, v102
	v_add_f16_e32 v103, v105, v103
	v_fmac_f16_e32 v105, -0.5, v110
	v_sub_f16_e32 v110, v203, v204
	v_fmac_f16_e32 v2, 0x3aee, v113
	v_pack_b32_f16 v96, v96, v97
	v_fmamk_f16 v97, v104, 0xbaee, v3
	v_fmac_f16_e32 v3, 0x3aee, v104
	v_fmamk_f16 v104, v110, 0x3aee, v105
	v_fmac_f16_e32 v105, 0xbaee, v110
	v_add_f16_e32 v110, v111, v204
	v_add_f16_e32 v102, v103, v102
	v_pack_b32_f16 v2, v2, v112
	ds_write2_b32 v192, v92, v96 offset1:10
	ds_write_b32 v192, v2 offset:80
	v_pack_b32_f16 v2, v3, v105
	v_lshrrev_b32_e32 v3, 16, v12
	v_pack_b32_f16 v92, v110, v102
	v_add_f16_e32 v96, v107, v109
	v_add_f16_e32 v102, v106, v108
	v_pack_b32_f16 v97, v97, v104
	v_add_f16_e32 v103, v3, v107
	v_sub_f16_e32 v104, v107, v109
	v_fmac_f16_e32 v3, -0.5, v96
	v_add_f16_e32 v96, v12, v106
	v_fma_f16 v12, -0.5, v102, v12
	v_sub_f16_e32 v102, v106, v108
	ds_write2_b32 v191, v92, v97 offset1:10
	v_add_f16_e32 v92, v103, v109
	v_add_f16_e32 v96, v96, v108
	v_fmamk_f16 v97, v104, 0xbaee, v12
	v_fmamk_f16 v103, v102, 0x3aee, v3
	v_fmac_f16_e32 v12, 0x3aee, v104
	v_fmac_f16_e32 v3, 0xbaee, v102
	ds_write_b32 v191, v2 offset:80
	v_pack_b32_f16 v2, v96, v92
	v_pack_b32_f16 v92, v97, v103
	v_add_f16_e32 v96, v205, v206
	v_pack_b32_f16 v3, v12, v3
	v_lshrrev_b32_e32 v12, 16, v13
	v_add_f16_e32 v97, v99, v98
	v_add_f16_e32 v102, v13, v205
	v_fmac_f16_e32 v13, -0.5, v96
	v_sub_f16_e32 v96, v99, v98
	v_add_f16_e32 v99, v12, v99
	v_fmac_f16_e32 v12, -0.5, v97
	v_sub_f16_e32 v97, v205, v206
	ds_write2_b32 v195, v2, v92 offset1:10
	ds_write_b32 v195, v3 offset:80
	v_fmamk_f16 v2, v96, 0xbaee, v13
	v_fmac_f16_e32 v13, 0x3aee, v96
	v_lshrrev_b32_e32 v92, 16, v14
	v_fmamk_f16 v3, v97, 0x3aee, v12
	v_fmac_f16_e32 v12, 0xbaee, v97
	v_add_f16_e32 v96, v199, v208
	v_add_f16_e32 v97, v102, v206
	;; [unrolled: 1-line block ×4, first 2 shown]
	v_sub_f16_e32 v104, v199, v208
	v_fmac_f16_e32 v92, -0.5, v96
	v_add_f16_e32 v96, v14, v200
	v_fma_f16 v14, -0.5, v102, v14
	v_sub_f16_e32 v102, v200, v207
	v_add_f16_e32 v98, v99, v98
	v_add_f16_e32 v99, v103, v208
	;; [unrolled: 1-line block ×3, first 2 shown]
	v_fmamk_f16 v103, v104, 0xbaee, v14
	v_fmamk_f16 v105, v102, 0x3aee, v92
	v_pack_b32_f16 v12, v13, v12
	v_pack_b32_f16 v13, v97, v98
	;; [unrolled: 1-line block ×5, first 2 shown]
	v_fmac_f16_e32 v14, 0x3aee, v104
	v_fmac_f16_e32 v92, 0xbaee, v102
	ds_write2_b32 v190, v13, v2 offset1:10
	ds_write_b32 v190, v12 offset:80
	ds_write2_b32 v197, v3, v96 offset1:10
	v_add_f16_e32 v2, v90, v211
	v_lshrrev_b32_e32 v12, 16, v15
	v_add_f16_e32 v13, v91, v94
	v_pack_b32_f16 v3, v14, v92
	v_add_f16_e32 v14, v15, v90
	v_fmac_f16_e32 v15, -0.5, v2
	v_sub_f16_e32 v2, v91, v94
	v_add_f16_e32 v91, v12, v91
	v_fmac_f16_e32 v12, -0.5, v13
	v_sub_f16_e32 v13, v90, v211
	ds_write_b32 v197, v3 offset:80
	v_fmamk_f16 v3, v2, 0xbaee, v15
	v_add_f16_e32 v14, v14, v211
	v_add_f16_e32 v90, v91, v94
	v_fmamk_f16 v91, v13, 0x3aee, v12
	v_lshrrev_b32_e32 v92, 16, v88
	v_fmac_f16_e32 v15, 0x3aee, v2
	v_fmac_f16_e32 v12, 0xbaee, v13
	v_pack_b32_f16 v2, v14, v90
	v_pack_b32_f16 v3, v3, v91
	v_add_f16_e32 v13, v92, v95
	v_add_f16_e32 v14, v95, v101
	;; [unrolled: 1-line block ×4, first 2 shown]
	v_sub_f16_e32 v94, v95, v101
	v_add_f16_e32 v13, v13, v101
	v_fmac_f16_e32 v92, -0.5, v14
	v_add_f16_e32 v14, v90, v210
	v_fma_f16 v88, -0.5, v91, v88
	v_sub_f16_e32 v90, v209, v210
	v_pack_b32_f16 v12, v15, v12
	ds_write2_b32 v188, v2, v3 offset1:10
	v_pack_b32_f16 v2, v14, v13
	v_fmamk_f16 v3, v94, 0xbaee, v88
	v_add_f16_e32 v14, v212, v93
	v_fmac_f16_e32 v88, 0x3aee, v94
	v_lshrrev_b32_e32 v15, 16, v89
	v_add_f16_e32 v94, v100, v213
	v_fmamk_f16 v13, v90, 0x3aee, v92
	v_add_f16_e32 v91, v89, v212
	v_fmac_f16_e32 v89, -0.5, v14
	v_sub_f16_e32 v14, v100, v213
	v_fmac_f16_e32 v92, 0xbaee, v90
	v_add_f16_e32 v90, v15, v100
	v_fmac_f16_e32 v15, -0.5, v94
	v_sub_f16_e32 v94, v212, v93
	v_fmamk_f16 v95, v14, 0xbaee, v89
	v_fmac_f16_e32 v89, 0x3aee, v14
	v_add_f16_e32 v14, v91, v93
	v_add_f16_e32 v90, v90, v213
	v_fmamk_f16 v91, v94, 0x3aee, v15
	v_fmac_f16_e32 v15, 0xbaee, v94
	v_pack_b32_f16 v3, v3, v13
	v_pack_b32_f16 v13, v88, v92
	;; [unrolled: 1-line block ×5, first 2 shown]
	ds_write_b32 v188, v12 offset:80
	ds_write2_b32 v194, v2, v3 offset1:10
	ds_write_b32 v194, v13 offset:80
	ds_write2_b32 v196, v14, v88 offset1:10
	ds_write_b32 v196, v15 offset:80
	s_waitcnt lgkmcnt(0)
	s_barrier
	buffer_gl0_inv
	ds_read2_b32 v[2:3], v140 offset0:42 offset1:123
	ds_read2_b32 v[12:13], v152 offset0:84 offset1:165
	;; [unrolled: 1-line block ×4, first 2 shown]
	s_waitcnt lgkmcnt(3)
	v_lshrrev_b32_e32 v90, 16, v2
	v_mul_f16_sdwa v91, v86, v2 dst_sel:DWORD dst_unused:UNUSED_PAD src0_sel:WORD_1 src1_sel:DWORD
	s_waitcnt lgkmcnt(2)
	v_lshrrev_b32_e32 v92, 16, v12
	v_mul_f16_sdwa v93, v87, v12 dst_sel:DWORD dst_unused:UNUSED_PAD src0_sel:WORD_1 src1_sel:DWORD
	v_lshrrev_b32_e32 v94, 16, v3
	s_waitcnt lgkmcnt(1)
	v_lshrrev_b32_e32 v97, 16, v14
	v_fma_f16 v91, v86, v90, -v91
	v_mul_f16_sdwa v90, v86, v90 dst_sel:DWORD dst_unused:UNUSED_PAD src0_sel:WORD_1 src1_sel:DWORD
	v_mul_f16_sdwa v95, v87, v92 dst_sel:DWORD dst_unused:UNUSED_PAD src0_sel:WORD_1 src1_sel:DWORD
	v_fma_f16 v92, v87, v92, -v93
	v_lshrrev_b32_e32 v93, 16, v13
	v_mul_f16_sdwa v96, v84, v94 dst_sel:DWORD dst_unused:UNUSED_PAD src0_sel:WORD_1 src1_sel:DWORD
	v_fmac_f16_e32 v90, v86, v2
	v_fmac_f16_e32 v95, v87, v12
	v_mul_f16_sdwa v87, v85, v13 dst_sel:DWORD dst_unused:UNUSED_PAD src0_sel:WORD_1 src1_sel:DWORD
	v_mul_f16_sdwa v86, v85, v93 dst_sel:DWORD dst_unused:UNUSED_PAD src0_sel:WORD_1 src1_sel:DWORD
	v_fmac_f16_e32 v96, v84, v3
	v_mul_f16_sdwa v12, v84, v3 dst_sel:DWORD dst_unused:UNUSED_PAD src0_sel:WORD_1 src1_sel:DWORD
	v_mul_f16_sdwa v98, v82, v14 dst_sel:DWORD dst_unused:UNUSED_PAD src0_sel:WORD_1 src1_sel:DWORD
	ds_read2_b32 v[2:3], v154 offset0:110 offset1:191
	v_fmac_f16_e32 v86, v85, v13
	v_fma_f16 v85, v85, v93, -v87
	s_waitcnt lgkmcnt(1)
	v_lshrrev_b32_e32 v93, 16, v88
	v_fma_f16 v84, v84, v94, -v12
	v_fma_f16 v87, v82, v97, -v98
	v_lshrrev_b32_e32 v94, 16, v15
	v_mul_f16_sdwa v98, v83, v88 dst_sel:DWORD dst_unused:UNUSED_PAD src0_sel:WORD_1 src1_sel:DWORD
	ds_read2_b32 v[12:13], v149 offset0:152 offset1:233
	v_mul_f16_sdwa v97, v82, v97 dst_sel:DWORD dst_unused:UNUSED_PAD src0_sel:WORD_1 src1_sel:DWORD
	v_mul_f16_sdwa v99, v83, v93 dst_sel:DWORD dst_unused:UNUSED_PAD src0_sel:WORD_1 src1_sel:DWORD
	v_lshrrev_b32_e32 v101, 16, v89
	v_mul_f16_sdwa v100, v80, v94 dst_sel:DWORD dst_unused:UNUSED_PAD src0_sel:WORD_1 src1_sel:DWORD
	v_fma_f16 v93, v83, v93, -v98
	v_fmac_f16_e32 v97, v82, v14
	v_fmac_f16_e32 v99, v83, v88
	v_mul_f16_sdwa v82, v81, v101 dst_sel:DWORD dst_unused:UNUSED_PAD src0_sel:WORD_1 src1_sel:DWORD
	v_mul_f16_sdwa v83, v80, v15 dst_sel:DWORD dst_unused:UNUSED_PAD src0_sel:WORD_1 src1_sel:DWORD
	;; [unrolled: 1-line block ×3, first 2 shown]
	v_fmac_f16_e32 v100, v80, v15
	ds_read2_b32 v[14:15], v137 offset0:16 offset1:97
	v_fmac_f16_e32 v82, v81, v89
	v_fma_f16 v83, v80, v94, -v83
	v_fma_f16 v88, v81, v101, -v88
	ds_read2_b32 v[80:81], v147 offset0:58 offset1:139
	s_waitcnt lgkmcnt(3)
	v_lshrrev_b32_e32 v98, 16, v2
	v_mul_f16_sdwa v102, v76, v2 dst_sel:DWORD dst_unused:UNUSED_PAD src0_sel:WORD_1 src1_sel:DWORD
	v_lshrrev_b32_e32 v101, 16, v3
	s_waitcnt lgkmcnt(2)
	v_lshrrev_b32_e32 v94, 16, v12
	v_lshrrev_b32_e32 v103, 16, v13
	v_fma_f16 v89, v76, v98, -v102
	v_mul_f16_sdwa v98, v76, v98 dst_sel:DWORD dst_unused:UNUSED_PAD src0_sel:WORD_1 src1_sel:DWORD
	v_mul_f16_sdwa v105, v78, v101 dst_sel:DWORD dst_unused:UNUSED_PAD src0_sel:WORD_1 src1_sel:DWORD
	;; [unrolled: 1-line block ×4, first 2 shown]
	v_fmac_f16_e32 v98, v76, v2
	v_mul_f16_sdwa v76, v79, v103 dst_sel:DWORD dst_unused:UNUSED_PAD src0_sel:WORD_1 src1_sel:DWORD
	v_fmac_f16_e32 v105, v78, v3
	v_mul_f16_sdwa v2, v78, v3 dst_sel:DWORD dst_unused:UNUSED_PAD src0_sel:WORD_1 src1_sel:DWORD
	v_mul_f16_sdwa v3, v79, v13 dst_sel:DWORD dst_unused:UNUSED_PAD src0_sel:WORD_1 src1_sel:DWORD
	v_fma_f16 v94, v77, v94, -v102
	v_fmac_f16_e32 v104, v77, v12
	v_fmac_f16_e32 v76, v79, v13
	s_waitcnt lgkmcnt(1)
	v_lshrrev_b32_e32 v77, 16, v14
	v_mul_f16_sdwa v102, v70, v14 dst_sel:DWORD dst_unused:UNUSED_PAD src0_sel:WORD_1 src1_sel:DWORD
	v_fma_f16 v78, v78, v101, -v2
	v_fma_f16 v79, v79, v103, -v3
	ds_read2_b32 v[2:3], v153 offset0:50 offset1:131
	s_waitcnt lgkmcnt(1)
	v_lshrrev_b32_e32 v101, 16, v80
	ds_read2_b32 v[12:13], v131 offset0:92 offset1:173
	v_fma_f16 v102, v70, v77, -v102
	v_mul_f16_sdwa v103, v71, v80 dst_sel:DWORD dst_unused:UNUSED_PAD src0_sel:WORD_1 src1_sel:DWORD
	v_mul_f16_sdwa v77, v70, v77 dst_sel:DWORD dst_unused:UNUSED_PAD src0_sel:WORD_1 src1_sel:DWORD
	;; [unrolled: 1-line block ×3, first 2 shown]
	v_lshrrev_b32_e32 v106, 16, v15
	v_lshrrev_b32_e32 v107, 16, v81
	v_fma_f16 v101, v71, v101, -v103
	v_fmac_f16_e32 v77, v70, v14
	v_fmac_f16_e32 v108, v71, v80
	ds_read2_b32 v[70:71], v148 offset1:81
	v_mul_f16_sdwa v103, v60, v106 dst_sel:DWORD dst_unused:UNUSED_PAD src0_sel:WORD_1 src1_sel:DWORD
	v_mul_f16_sdwa v109, v61, v107 dst_sel:DWORD dst_unused:UNUSED_PAD src0_sel:WORD_1 src1_sel:DWORD
	;; [unrolled: 1-line block ×3, first 2 shown]
	v_fmac_f16_e32 v103, v60, v15
	v_fmac_f16_e32 v109, v61, v81
	v_mul_f16_sdwa v15, v61, v81 dst_sel:DWORD dst_unused:UNUSED_PAD src0_sel:WORD_1 src1_sel:DWORD
	v_fma_f16 v60, v60, v106, -v14
	s_waitcnt lgkmcnt(2)
	v_lshrrev_b32_e32 v14, 16, v2
	s_waitcnt lgkmcnt(1)
	v_lshrrev_b32_e32 v81, 16, v12
	v_mul_f16_sdwa v80, v62, v2 dst_sel:DWORD dst_unused:UNUSED_PAD src0_sel:WORD_1 src1_sel:DWORD
	v_fma_f16 v61, v61, v107, -v15
	v_mul_f16_sdwa v106, v63, v12 dst_sel:DWORD dst_unused:UNUSED_PAD src0_sel:WORD_1 src1_sel:DWORD
	v_mul_f16_sdwa v107, v62, v14 dst_sel:DWORD dst_unused:UNUSED_PAD src0_sel:WORD_1 src1_sel:DWORD
	v_mul_f16_sdwa v111, v63, v81 dst_sel:DWORD dst_unused:UNUSED_PAD src0_sel:WORD_1 src1_sel:DWORD
	v_lshrrev_b32_e32 v110, 16, v3
	v_fma_f16 v80, v62, v14, -v80
	v_add_f16_e32 v14, v90, v95
	v_fmac_f16_e32 v107, v62, v2
	v_fmac_f16_e32 v111, v63, v12
	s_waitcnt lgkmcnt(0)
	v_lshrrev_b32_e32 v62, 16, v70
	v_add_f16_e32 v12, v91, v92
	v_mul_f16_sdwa v112, v52, v110 dst_sel:DWORD dst_unused:UNUSED_PAD src0_sel:WORD_1 src1_sel:DWORD
	v_lshrrev_b32_e32 v2, 16, v13
	v_fma_f16 v81, v63, v81, -v106
	v_add_f16_e32 v15, v62, v91
	v_fmac_f16_e32 v62, -0.5, v12
	v_add_f16_e32 v12, v70, v90
	v_fmac_f16_e32 v112, v52, v3
	v_mul_f16_sdwa v3, v52, v3 dst_sel:DWORD dst_unused:UNUSED_PAD src0_sel:WORD_1 src1_sel:DWORD
	v_mul_f16_sdwa v63, v53, v2 dst_sel:DWORD dst_unused:UNUSED_PAD src0_sel:WORD_1 src1_sel:DWORD
	v_fma_f16 v70, -0.5, v14, v70
	v_mul_f16_sdwa v14, v53, v13 dst_sel:DWORD dst_unused:UNUSED_PAD src0_sel:WORD_1 src1_sel:DWORD
	v_add_f16_e32 v15, v15, v92
	v_add_f16_e32 v12, v12, v95
	v_sub_f16_e32 v91, v91, v92
	v_sub_f16_e32 v90, v90, v95
	v_fmac_f16_e32 v63, v53, v13
	v_fma_f16 v106, v52, v110, -v3
	v_fma_f16 v110, v53, v2, -v14
	v_pack_b32_f16 v113, v12, v15
	ds_read2_b32 v[2:3], v148 offset0:162 offset1:243
	ds_read2_b32 v[12:13], v143 offset0:68 offset1:149
	;; [unrolled: 1-line block ×4, first 2 shown]
	v_fmamk_f16 v92, v91, 0xbaee, v70
	v_fmamk_f16 v95, v90, 0x3aee, v62
	v_fmac_f16_e32 v70, 0x3aee, v91
	v_add_f16_e32 v91, v96, v86
	v_fmac_f16_e32 v62, 0xbaee, v90
	v_lshrrev_b32_e32 v90, 16, v71
	v_pack_b32_f16 v92, v92, v95
	v_add_f16_e32 v95, v84, v85
	v_add_f16_e32 v159, v71, v96
	v_fmac_f16_e32 v71, -0.5, v91
	v_sub_f16_e32 v91, v84, v85
	v_add_f16_e32 v84, v90, v84
	v_fmac_f16_e32 v90, -0.5, v95
	v_sub_f16_e32 v95, v96, v86
	v_pack_b32_f16 v62, v70, v62
	v_fmamk_f16 v70, v91, 0xbaee, v71
	v_fmac_f16_e32 v71, 0x3aee, v91
	v_add_f16_e32 v86, v159, v86
	v_fmamk_f16 v91, v95, 0x3aee, v90
	v_fmac_f16_e32 v90, 0xbaee, v95
	v_add_f16_e32 v84, v84, v85
	s_waitcnt lgkmcnt(3)
	v_lshrrev_b32_e32 v85, 16, v2
	s_waitcnt lgkmcnt(0)
	s_barrier
	buffer_gl0_inv
	ds_write_b32 v178, v62 offset:240
	v_pack_b32_f16 v62, v71, v90
	v_pack_b32_f16 v71, v86, v84
	;; [unrolled: 1-line block ×3, first 2 shown]
	v_add_f16_e32 v84, v85, v87
	v_add_f16_e32 v86, v87, v93
	v_add_f16_e32 v90, v2, v97
	v_add_f16_e32 v91, v97, v99
	v_sub_f16_e32 v87, v87, v93
	v_add_f16_e32 v84, v84, v93
	v_fmac_f16_e32 v85, -0.5, v86
	v_add_f16_e32 v86, v90, v99
	v_fma_f16 v2, -0.5, v91, v2
	ds_write2_b32 v178, v113, v92 offset1:30
	v_sub_f16_e32 v90, v97, v99
	ds_write2_b32 v183, v71, v70 offset1:30
	ds_write_b32 v183, v62 offset:240
	v_pack_b32_f16 v62, v86, v84
	v_fmamk_f16 v70, v87, 0xbaee, v2
	v_fmac_f16_e32 v2, 0x3aee, v87
	v_add_f16_e32 v84, v100, v82
	v_lshrrev_b32_e32 v86, 16, v3
	v_add_f16_e32 v87, v83, v88
	v_fmamk_f16 v71, v90, 0x3aee, v85
	v_fmac_f16_e32 v85, 0xbaee, v90
	v_add_f16_e32 v90, v3, v100
	v_fmac_f16_e32 v3, -0.5, v84
	v_sub_f16_e32 v84, v83, v88
	v_add_f16_e32 v83, v86, v83
	v_fmac_f16_e32 v86, -0.5, v87
	v_sub_f16_e32 v87, v100, v82
	v_pack_b32_f16 v70, v70, v71
	v_fmamk_f16 v71, v84, 0xbaee, v3
	v_fmac_f16_e32 v3, 0x3aee, v84
	v_add_f16_e32 v82, v90, v82
	v_fmamk_f16 v84, v87, 0x3aee, v86
	v_fmac_f16_e32 v86, 0xbaee, v87
	v_add_f16_e32 v83, v83, v88
	v_pack_b32_f16 v2, v2, v85
	ds_write2_b32 v182, v62, v70 offset1:30
	ds_write_b32 v182, v2 offset:240
	v_pack_b32_f16 v2, v3, v86
	v_lshrrev_b32_e32 v3, 16, v12
	v_pack_b32_f16 v62, v82, v83
	v_add_f16_e32 v70, v89, v94
	v_add_f16_e32 v82, v98, v104
	v_pack_b32_f16 v71, v71, v84
	v_add_f16_e32 v83, v3, v89
	v_sub_f16_e32 v84, v89, v94
	v_fmac_f16_e32 v3, -0.5, v70
	v_add_f16_e32 v70, v12, v98
	v_fma_f16 v12, -0.5, v82, v12
	v_sub_f16_e32 v82, v98, v104
	ds_write2_b32 v181, v62, v71 offset1:30
	v_add_f16_e32 v62, v83, v94
	v_add_f16_e32 v70, v70, v104
	v_fmamk_f16 v71, v84, 0xbaee, v12
	v_fmamk_f16 v83, v82, 0x3aee, v3
	v_fmac_f16_e32 v12, 0x3aee, v84
	v_fmac_f16_e32 v3, 0xbaee, v82
	ds_write_b32 v181, v2 offset:240
	v_pack_b32_f16 v2, v70, v62
	v_pack_b32_f16 v62, v71, v83
	v_add_f16_e32 v70, v105, v76
	v_pack_b32_f16 v3, v12, v3
	v_lshrrev_b32_e32 v12, 16, v13
	v_add_f16_e32 v71, v78, v79
	v_add_f16_e32 v82, v13, v105
	v_fmac_f16_e32 v13, -0.5, v70
	v_sub_f16_e32 v70, v78, v79
	v_add_f16_e32 v78, v12, v78
	v_fmac_f16_e32 v12, -0.5, v71
	v_sub_f16_e32 v71, v105, v76
	ds_write2_b32 v185, v2, v62 offset1:30
	ds_write_b32 v185, v3 offset:240
	v_fmamk_f16 v2, v70, 0xbaee, v13
	v_fmac_f16_e32 v13, 0x3aee, v70
	v_lshrrev_b32_e32 v62, 16, v14
	v_fmamk_f16 v3, v71, 0x3aee, v12
	v_fmac_f16_e32 v12, 0xbaee, v71
	v_add_f16_e32 v70, v102, v101
	v_add_f16_e32 v71, v82, v76
	;; [unrolled: 1-line block ×4, first 2 shown]
	v_sub_f16_e32 v83, v102, v101
	v_fmac_f16_e32 v62, -0.5, v70
	v_add_f16_e32 v70, v14, v77
	v_fma_f16 v14, -0.5, v76, v14
	v_sub_f16_e32 v76, v77, v108
	v_add_f16_e32 v77, v78, v79
	v_add_f16_e32 v78, v82, v101
	;; [unrolled: 1-line block ×3, first 2 shown]
	v_fmamk_f16 v79, v83, 0xbaee, v14
	v_fmamk_f16 v82, v76, 0x3aee, v62
	v_pack_b32_f16 v12, v13, v12
	v_pack_b32_f16 v13, v71, v77
	;; [unrolled: 1-line block ×5, first 2 shown]
	v_fmac_f16_e32 v14, 0x3aee, v83
	v_fmac_f16_e32 v62, 0xbaee, v76
	ds_write2_b32 v179, v13, v2 offset1:30
	ds_write_b32 v179, v12 offset:240
	ds_write2_b32 v184, v3, v70 offset1:30
	v_add_f16_e32 v2, v103, v109
	v_lshrrev_b32_e32 v12, 16, v15
	v_add_f16_e32 v13, v60, v61
	v_pack_b32_f16 v3, v14, v62
	v_add_f16_e32 v14, v15, v103
	v_fmac_f16_e32 v15, -0.5, v2
	v_sub_f16_e32 v2, v60, v61
	v_add_f16_e32 v60, v12, v60
	v_fmac_f16_e32 v12, -0.5, v13
	v_sub_f16_e32 v13, v103, v109
	ds_write_b32 v184, v3 offset:240
	v_fmamk_f16 v3, v2, 0xbaee, v15
	v_add_f16_e32 v14, v14, v109
	v_add_f16_e32 v60, v60, v61
	v_fmamk_f16 v61, v13, 0x3aee, v12
	v_lshrrev_b32_e32 v62, 16, v52
	v_fmac_f16_e32 v15, 0x3aee, v2
	v_fmac_f16_e32 v12, 0xbaee, v13
	v_pack_b32_f16 v2, v14, v60
	v_pack_b32_f16 v3, v3, v61
	v_add_f16_e32 v13, v62, v80
	v_add_f16_e32 v14, v80, v81
	;; [unrolled: 1-line block ×4, first 2 shown]
	v_sub_f16_e32 v70, v80, v81
	v_add_f16_e32 v13, v13, v81
	v_fmac_f16_e32 v62, -0.5, v14
	v_add_f16_e32 v14, v60, v111
	v_fma_f16 v52, -0.5, v61, v52
	v_sub_f16_e32 v60, v107, v111
	v_pack_b32_f16 v12, v15, v12
	ds_write2_b32 v177, v2, v3 offset1:30
	v_pack_b32_f16 v2, v14, v13
	v_fmamk_f16 v3, v70, 0xbaee, v52
	v_add_f16_e32 v14, v112, v63
	v_fmac_f16_e32 v52, 0x3aee, v70
	v_lshrrev_b32_e32 v15, 16, v53
	v_add_f16_e32 v70, v106, v110
	v_fmamk_f16 v13, v60, 0x3aee, v62
	v_add_f16_e32 v61, v53, v112
	v_fmac_f16_e32 v53, -0.5, v14
	v_sub_f16_e32 v14, v106, v110
	v_fmac_f16_e32 v62, 0xbaee, v60
	v_add_f16_e32 v60, v15, v106
	v_fmac_f16_e32 v15, -0.5, v70
	v_sub_f16_e32 v70, v112, v63
	v_fmamk_f16 v71, v14, 0xbaee, v53
	v_fmac_f16_e32 v53, 0x3aee, v14
	v_add_f16_e32 v14, v61, v63
	v_add_f16_e32 v60, v60, v110
	v_fmamk_f16 v61, v70, 0x3aee, v15
	v_fmac_f16_e32 v15, 0xbaee, v70
	v_pack_b32_f16 v3, v3, v13
	v_pack_b32_f16 v13, v52, v62
	;; [unrolled: 1-line block ×5, first 2 shown]
	ds_write_b32 v177, v12 offset:240
	ds_write2_b32 v180, v2, v3 offset1:30
	ds_write_b32 v180, v13 offset:240
	ds_write2_b32 v186, v14, v52 offset1:30
	ds_write_b32 v186, v15 offset:240
	s_waitcnt lgkmcnt(0)
	s_barrier
	buffer_gl0_inv
	ds_read2_b32 v[2:3], v140 offset0:42 offset1:123
	ds_read2_b32 v[12:13], v152 offset0:84 offset1:165
	;; [unrolled: 1-line block ×3, first 2 shown]
	s_waitcnt lgkmcnt(2)
	v_lshrrev_b32_e32 v60, 16, v2
	v_mul_f16_sdwa v52, v50, v2 dst_sel:DWORD dst_unused:UNUSED_PAD src0_sel:WORD_1 src1_sel:DWORD
	s_waitcnt lgkmcnt(1)
	v_lshrrev_b32_e32 v62, 16, v12
	v_lshrrev_b32_e32 v63, 16, v3
	;; [unrolled: 1-line block ×3, first 2 shown]
	v_mul_f16_sdwa v70, v51, v12 dst_sel:DWORD dst_unused:UNUSED_PAD src0_sel:WORD_1 src1_sel:DWORD
	v_fma_f16 v61, v50, v60, -v52
	ds_read2_b32 v[52:53], v134 offset0:118 offset1:199
	v_mul_f16_sdwa v60, v50, v60 dst_sel:DWORD dst_unused:UNUSED_PAD src0_sel:WORD_1 src1_sel:DWORD
	v_mul_f16_sdwa v71, v51, v62 dst_sel:DWORD dst_unused:UNUSED_PAD src0_sel:WORD_1 src1_sel:DWORD
	;; [unrolled: 1-line block ×3, first 2 shown]
	v_fma_f16 v62, v51, v62, -v70
	s_waitcnt lgkmcnt(1)
	v_mul_f16_sdwa v70, v44, v14 dst_sel:DWORD dst_unused:UNUSED_PAD src0_sel:WORD_1 src1_sel:DWORD
	v_fmac_f16_e32 v60, v50, v2
	v_mul_f16_sdwa v2, v48, v3 dst_sel:DWORD dst_unused:UNUSED_PAD src0_sel:WORD_1 src1_sel:DWORD
	v_fmac_f16_e32 v71, v51, v12
	v_fmac_f16_e32 v76, v48, v3
	v_mul_f16_sdwa v50, v49, v77 dst_sel:DWORD dst_unused:UNUSED_PAD src0_sel:WORD_1 src1_sel:DWORD
	v_mul_f16_sdwa v12, v49, v13 dst_sel:DWORD dst_unused:UNUSED_PAD src0_sel:WORD_1 src1_sel:DWORD
	v_fma_f16 v48, v48, v63, -v2
	ds_read2_b32 v[2:3], v154 offset0:110 offset1:191
	v_lshrrev_b32_e32 v51, 16, v14
	v_fmac_f16_e32 v50, v49, v13
	v_fma_f16 v49, v49, v77, -v12
	ds_read2_b32 v[12:13], v149 offset0:152 offset1:233
	v_lshrrev_b32_e32 v78, 16, v15
	v_fma_f16 v63, v44, v51, -v70
	s_waitcnt lgkmcnt(2)
	v_lshrrev_b32_e32 v70, 16, v52
	v_mul_f16_sdwa v77, v45, v52 dst_sel:DWORD dst_unused:UNUSED_PAD src0_sel:WORD_1 src1_sel:DWORD
	v_lshrrev_b32_e32 v79, 16, v53
	v_mul_f16_sdwa v51, v44, v51 dst_sel:DWORD dst_unused:UNUSED_PAD src0_sel:WORD_1 src1_sel:DWORD
	v_mul_f16_sdwa v80, v40, v78 dst_sel:DWORD dst_unused:UNUSED_PAD src0_sel:WORD_1 src1_sel:DWORD
	v_add_f16_e32 v95, v48, v49
	v_fma_f16 v77, v45, v70, -v77
	v_mul_f16_sdwa v70, v45, v70 dst_sel:DWORD dst_unused:UNUSED_PAD src0_sel:WORD_1 src1_sel:DWORD
	v_mul_f16_sdwa v81, v41, v79 dst_sel:DWORD dst_unused:UNUSED_PAD src0_sel:WORD_1 src1_sel:DWORD
	v_fmac_f16_e32 v51, v44, v14
	v_mul_f16_sdwa v14, v40, v15 dst_sel:DWORD dst_unused:UNUSED_PAD src0_sel:WORD_1 src1_sel:DWORD
	v_fmac_f16_e32 v80, v40, v15
	v_fmac_f16_e32 v70, v45, v52
	;; [unrolled: 1-line block ×3, first 2 shown]
	v_mul_f16_sdwa v44, v41, v53 dst_sel:DWORD dst_unused:UNUSED_PAD src0_sel:WORD_1 src1_sel:DWORD
	v_fma_f16 v45, v40, v78, -v14
	s_waitcnt lgkmcnt(1)
	v_lshrrev_b32_e32 v52, 16, v2
	v_mul_f16_sdwa v53, v36, v2 dst_sel:DWORD dst_unused:UNUSED_PAD src0_sel:WORD_1 src1_sel:DWORD
	ds_read2_b32 v[14:15], v137 offset0:16 offset1:97
	v_fma_f16 v44, v41, v79, -v44
	ds_read2_b32 v[40:41], v147 offset0:58 offset1:139
	s_waitcnt lgkmcnt(2)
	v_lshrrev_b32_e32 v78, 16, v12
	v_mul_f16_sdwa v79, v37, v12 dst_sel:DWORD dst_unused:UNUSED_PAD src0_sel:WORD_1 src1_sel:DWORD
	v_fma_f16 v53, v36, v52, -v53
	v_lshrrev_b32_e32 v82, 16, v3
	v_lshrrev_b32_e32 v83, 16, v13
	v_mul_f16_sdwa v52, v36, v52 dst_sel:DWORD dst_unused:UNUSED_PAD src0_sel:WORD_1 src1_sel:DWORD
	v_fma_f16 v79, v37, v78, -v79
	v_mul_f16_sdwa v78, v37, v78 dst_sel:DWORD dst_unused:UNUSED_PAD src0_sel:WORD_1 src1_sel:DWORD
	v_mul_f16_sdwa v84, v32, v82 dst_sel:DWORD dst_unused:UNUSED_PAD src0_sel:WORD_1 src1_sel:DWORD
	;; [unrolled: 1-line block ×3, first 2 shown]
	v_fmac_f16_e32 v52, v36, v2
	v_mul_f16_sdwa v2, v32, v3 dst_sel:DWORD dst_unused:UNUSED_PAD src0_sel:WORD_1 src1_sel:DWORD
	v_fmac_f16_e32 v78, v37, v12
	v_fmac_f16_e32 v84, v32, v3
	;; [unrolled: 1-line block ×3, first 2 shown]
	v_mul_f16_sdwa v36, v33, v13 dst_sel:DWORD dst_unused:UNUSED_PAD src0_sel:WORD_1 src1_sel:DWORD
	v_fma_f16 v37, v32, v82, -v2
	ds_read2_b32 v[2:3], v153 offset0:50 offset1:131
	ds_read2_b32 v[12:13], v131 offset0:92 offset1:173
	s_waitcnt lgkmcnt(3)
	v_lshrrev_b32_e32 v32, 16, v14
	v_mul_f16_sdwa v82, v20, v14 dst_sel:DWORD dst_unused:UNUSED_PAD src0_sel:WORD_1 src1_sel:DWORD
	s_waitcnt lgkmcnt(2)
	v_lshrrev_b32_e32 v86, 16, v40
	v_mul_f16_sdwa v87, v21, v40 dst_sel:DWORD dst_unused:UNUSED_PAD src0_sel:WORD_1 src1_sel:DWORD
	v_fma_f16 v36, v33, v83, -v36
	v_mul_f16_sdwa v83, v20, v32 dst_sel:DWORD dst_unused:UNUSED_PAD src0_sel:WORD_1 src1_sel:DWORD
	v_fma_f16 v82, v20, v32, -v82
	v_lshrrev_b32_e32 v88, 16, v15
	ds_read2_b32 v[32:33], v148 offset1:81
	v_fma_f16 v87, v21, v86, -v87
	v_lshrrev_b32_e32 v89, 16, v41
	v_mul_f16_sdwa v86, v21, v86 dst_sel:DWORD dst_unused:UNUSED_PAD src0_sel:WORD_1 src1_sel:DWORD
	v_fmac_f16_e32 v83, v20, v14
	v_mul_f16_sdwa v20, v22, v88 dst_sel:DWORD dst_unused:UNUSED_PAD src0_sel:WORD_1 src1_sel:DWORD
	v_mul_f16_sdwa v14, v22, v15 dst_sel:DWORD dst_unused:UNUSED_PAD src0_sel:WORD_1 src1_sel:DWORD
	;; [unrolled: 1-line block ×4, first 2 shown]
	v_fmac_f16_e32 v86, v21, v40
	v_fmac_f16_e32 v20, v22, v15
	v_fma_f16 v21, v22, v88, -v14
	s_waitcnt lgkmcnt(2)
	v_lshrrev_b32_e32 v14, 16, v2
	s_waitcnt lgkmcnt(1)
	v_lshrrev_b32_e32 v15, 16, v12
	v_fmac_f16_e32 v90, v23, v41
	v_fma_f16 v22, v23, v89, -v91
	v_mul_f16_sdwa v23, v24, v2 dst_sel:DWORD dst_unused:UNUSED_PAD src0_sel:WORD_1 src1_sel:DWORD
	v_mul_f16_sdwa v88, v24, v14 dst_sel:DWORD dst_unused:UNUSED_PAD src0_sel:WORD_1 src1_sel:DWORD
	;; [unrolled: 1-line block ×3, first 2 shown]
	v_lshrrev_b32_e32 v40, 16, v3
	v_mul_f16_sdwa v41, v25, v12 dst_sel:DWORD dst_unused:UNUSED_PAD src0_sel:WORD_1 src1_sel:DWORD
	v_fma_f16 v23, v24, v14, -v23
	v_fmac_f16_e32 v88, v24, v2
	v_fmac_f16_e32 v89, v25, v12
	s_waitcnt lgkmcnt(0)
	v_lshrrev_b32_e32 v24, 16, v32
	v_add_f16_e32 v12, v61, v62
	v_mul_f16_sdwa v91, v10, v40 dst_sel:DWORD dst_unused:UNUSED_PAD src0_sel:WORD_1 src1_sel:DWORD
	v_fma_f16 v41, v25, v15, -v41
	v_lshrrev_b32_e32 v2, 16, v13
	v_add_f16_e32 v14, v60, v71
	v_add_f16_e32 v15, v24, v61
	v_fmac_f16_e32 v24, -0.5, v12
	v_add_f16_e32 v12, v32, v60
	v_fmac_f16_e32 v91, v10, v3
	v_mul_f16_sdwa v3, v10, v3 dst_sel:DWORD dst_unused:UNUSED_PAD src0_sel:WORD_1 src1_sel:DWORD
	v_mul_f16_sdwa v25, v11, v2 dst_sel:DWORD dst_unused:UNUSED_PAD src0_sel:WORD_1 src1_sel:DWORD
	v_fma_f16 v32, -0.5, v14, v32
	v_mul_f16_sdwa v14, v11, v13 dst_sel:DWORD dst_unused:UNUSED_PAD src0_sel:WORD_1 src1_sel:DWORD
	v_add_f16_e32 v15, v15, v62
	v_add_f16_e32 v12, v12, v71
	v_sub_f16_e32 v61, v61, v62
	v_sub_f16_e32 v60, v60, v71
	v_fmac_f16_e32 v25, v11, v13
	v_fma_f16 v40, v10, v40, -v3
	v_fma_f16 v92, v11, v2, -v14
	v_pack_b32_f16 v93, v12, v15
	ds_read2_b32 v[2:3], v148 offset0:162 offset1:243
	ds_read2_b32 v[10:11], v143 offset0:68 offset1:149
	;; [unrolled: 1-line block ×4, first 2 shown]
	v_fmamk_f16 v62, v61, 0xbaee, v32
	v_fmamk_f16 v71, v60, 0x3aee, v24
	v_lshrrev_b32_e32 v94, 16, v33
	v_add_f16_e32 v96, v33, v76
	v_fmac_f16_e32 v32, 0x3aee, v61
	v_fmac_f16_e32 v24, 0xbaee, v60
	v_pack_b32_f16 v62, v62, v71
	v_add_f16_e32 v71, v76, v50
	v_sub_f16_e32 v76, v76, v50
	v_add_f16_e32 v50, v96, v50
	v_pack_b32_f16 v24, v32, v24
	s_waitcnt lgkmcnt(0)
	v_fmac_f16_e32 v33, -0.5, v71
	v_sub_f16_e32 v71, v48, v49
	v_add_f16_e32 v48, v94, v48
	v_fmac_f16_e32 v94, -0.5, v95
	v_lshrrev_b32_e32 v32, 16, v2
	s_barrier
	buffer_gl0_inv
	v_add_f16_e32 v48, v48, v49
	v_fmamk_f16 v95, v71, 0xbaee, v33
	v_fmac_f16_e32 v33, 0x3aee, v71
	v_fmamk_f16 v71, v76, 0x3aee, v94
	ds_write_b32 v148, v24 offset:720
	v_pack_b32_f16 v48, v50, v48
	v_add_f16_e32 v24, v32, v63
	v_add_f16_e32 v50, v63, v77
	;; [unrolled: 1-line block ×3, first 2 shown]
	v_fmac_f16_e32 v94, 0xbaee, v76
	v_pack_b32_f16 v49, v95, v71
	v_add_f16_e32 v61, v51, v70
	v_add_f16_e32 v24, v24, v77
	v_fmac_f16_e32 v32, -0.5, v50
	v_add_f16_e32 v50, v60, v70
	v_sub_f16_e32 v51, v51, v70
	v_pack_b32_f16 v33, v33, v94
	ds_write2_b32 v148, v93, v62 offset1:90
	v_sub_f16_e32 v62, v63, v77
	v_fma_f16 v2, -0.5, v61, v2
	ds_write2_b32 v165, v48, v49 offset1:90
	ds_write_b32 v165, v33 offset:720
	v_pack_b32_f16 v24, v50, v24
	v_fmamk_f16 v48, v51, 0x3aee, v32
	v_add_f16_e32 v49, v80, v81
	v_fmac_f16_e32 v32, 0xbaee, v51
	v_lshrrev_b32_e32 v50, 16, v3
	v_add_f16_e32 v51, v45, v44
	v_fmamk_f16 v33, v62, 0xbaee, v2
	v_fmac_f16_e32 v2, 0x3aee, v62
	v_add_f16_e32 v60, v3, v80
	v_fmac_f16_e32 v3, -0.5, v49
	v_sub_f16_e32 v49, v45, v44
	v_add_f16_e32 v45, v50, v45
	v_fmac_f16_e32 v50, -0.5, v51
	v_sub_f16_e32 v51, v80, v81
	v_pack_b32_f16 v33, v33, v48
	v_pack_b32_f16 v2, v2, v32
	v_fmamk_f16 v32, v49, 0xbaee, v3
	v_fmac_f16_e32 v3, 0x3aee, v49
	v_fmamk_f16 v48, v51, 0x3aee, v50
	v_fmac_f16_e32 v50, 0xbaee, v51
	v_add_f16_e32 v49, v60, v81
	v_add_f16_e32 v44, v45, v44
	ds_write2_b32 v163, v24, v33 offset1:90
	ds_write_b32 v163, v2 offset:720
	v_add_f16_e32 v33, v53, v79
	v_pack_b32_f16 v2, v3, v50
	v_lshrrev_b32_e32 v3, 16, v10
	v_pack_b32_f16 v24, v49, v44
	v_add_f16_e32 v44, v52, v78
	v_pack_b32_f16 v32, v32, v48
	v_sub_f16_e32 v48, v53, v79
	v_add_f16_e32 v45, v3, v53
	v_fmac_f16_e32 v3, -0.5, v33
	v_add_f16_e32 v33, v10, v52
	v_fma_f16 v10, -0.5, v44, v10
	v_sub_f16_e32 v44, v52, v78
	ds_write2_b32 v162, v24, v32 offset1:90
	v_add_f16_e32 v24, v45, v79
	v_add_f16_e32 v32, v33, v78
	v_fmamk_f16 v33, v48, 0xbaee, v10
	v_fmamk_f16 v45, v44, 0x3aee, v3
	v_fmac_f16_e32 v10, 0x3aee, v48
	v_fmac_f16_e32 v3, 0xbaee, v44
	ds_write_b32 v162, v2 offset:720
	v_pack_b32_f16 v2, v32, v24
	v_pack_b32_f16 v24, v33, v45
	v_add_f16_e32 v32, v84, v85
	v_pack_b32_f16 v3, v10, v3
	v_lshrrev_b32_e32 v10, 16, v11
	v_add_f16_e32 v33, v37, v36
	v_add_f16_e32 v44, v11, v84
	v_fmac_f16_e32 v11, -0.5, v32
	v_sub_f16_e32 v32, v37, v36
	v_add_f16_e32 v37, v10, v37
	v_fmac_f16_e32 v10, -0.5, v33
	v_sub_f16_e32 v33, v84, v85
	ds_write2_b32 v167, v2, v24 offset1:90
	ds_write_b32 v167, v3 offset:720
	v_fmamk_f16 v2, v32, 0xbaee, v11
	v_fmac_f16_e32 v11, 0x3aee, v32
	v_lshrrev_b32_e32 v24, 16, v12
	v_fmamk_f16 v3, v33, 0x3aee, v10
	v_fmac_f16_e32 v10, 0xbaee, v33
	v_add_f16_e32 v32, v82, v87
	v_add_f16_e32 v33, v44, v85
	;; [unrolled: 1-line block ×4, first 2 shown]
	v_sub_f16_e32 v48, v82, v87
	v_fmac_f16_e32 v24, -0.5, v32
	v_add_f16_e32 v32, v12, v83
	v_fma_f16 v12, -0.5, v44, v12
	v_sub_f16_e32 v44, v83, v86
	v_add_f16_e32 v36, v37, v36
	v_add_f16_e32 v37, v45, v87
	;; [unrolled: 1-line block ×3, first 2 shown]
	v_fmamk_f16 v45, v48, 0xbaee, v12
	v_fmamk_f16 v49, v44, 0x3aee, v24
	v_pack_b32_f16 v10, v11, v10
	v_pack_b32_f16 v11, v33, v36
	;; [unrolled: 1-line block ×5, first 2 shown]
	v_fmac_f16_e32 v12, 0x3aee, v48
	v_fmac_f16_e32 v24, 0xbaee, v44
	ds_write2_b32 v170, v11, v2 offset1:90
	ds_write_b32 v170, v10 offset:720
	ds_write2_b32 v169, v3, v32 offset1:90
	v_add_f16_e32 v2, v20, v90
	v_lshrrev_b32_e32 v10, 16, v13
	v_add_f16_e32 v11, v21, v22
	v_pack_b32_f16 v3, v12, v24
	v_add_f16_e32 v12, v13, v20
	v_fmac_f16_e32 v13, -0.5, v2
	v_sub_f16_e32 v2, v21, v22
	v_add_f16_e32 v21, v10, v21
	v_fmac_f16_e32 v10, -0.5, v11
	v_sub_f16_e32 v11, v20, v90
	v_add_f16_e32 v12, v12, v90
	ds_write_b32 v169, v3 offset:720
	v_add_f16_e32 v20, v21, v22
	v_lshrrev_b32_e32 v22, 16, v14
	v_fmamk_f16 v3, v2, 0xbaee, v13
	v_fmamk_f16 v21, v11, 0x3aee, v10
	v_fmac_f16_e32 v13, 0x3aee, v2
	v_fmac_f16_e32 v10, 0xbaee, v11
	v_pack_b32_f16 v2, v12, v20
	v_add_f16_e32 v11, v22, v23
	v_add_f16_e32 v12, v23, v41
	;; [unrolled: 1-line block ×3, first 2 shown]
	v_pack_b32_f16 v3, v3, v21
	v_add_f16_e32 v21, v88, v89
	v_add_f16_e32 v11, v11, v41
	v_fmac_f16_e32 v22, -0.5, v12
	v_add_f16_e32 v12, v20, v89
	v_sub_f16_e32 v23, v23, v41
	v_fma_f16 v14, -0.5, v21, v14
	v_pack_b32_f16 v10, v13, v10
	ds_write2_b32 v160, v2, v3 offset1:90
	v_pack_b32_f16 v2, v12, v11
	v_add_f16_e32 v12, v91, v25
	v_lshrrev_b32_e32 v13, 16, v15
	v_add_f16_e32 v21, v40, v92
	v_sub_f16_e32 v20, v88, v89
	v_fmamk_f16 v3, v23, 0xbaee, v14
	v_fmac_f16_e32 v14, 0x3aee, v23
	v_add_f16_e32 v23, v15, v91
	v_fmac_f16_e32 v15, -0.5, v12
	v_add_f16_e32 v12, v13, v40
	v_sub_f16_e32 v24, v40, v92
	v_fmac_f16_e32 v13, -0.5, v21
	v_sub_f16_e32 v21, v91, v25
	v_fmamk_f16 v11, v20, 0x3aee, v22
	v_fmac_f16_e32 v22, 0xbaee, v20
	v_add_f16_e32 v12, v12, v92
	v_add_f16_e32 v20, v23, v25
	v_fmamk_f16 v23, v24, 0xbaee, v15
	v_fmamk_f16 v25, v21, 0x3aee, v13
	v_fmac_f16_e32 v15, 0x3aee, v24
	v_fmac_f16_e32 v13, 0xbaee, v21
	v_pack_b32_f16 v3, v3, v11
	v_pack_b32_f16 v11, v14, v22
	;; [unrolled: 1-line block ×5, first 2 shown]
	ds_write_b32 v160, v10 offset:720
	ds_write2_b32 v164, v2, v3 offset1:90
	ds_write_b32 v164, v11 offset:720
	ds_write2_b32 v168, v12, v14 offset0:112 offset1:202
	ds_write_b32 v166, v13 offset:9360
	s_waitcnt lgkmcnt(0)
	s_barrier
	buffer_gl0_inv
	ds_read2_b32 v[2:3], v140 offset0:42 offset1:123
	ds_read2_b32 v[10:11], v152 offset0:84 offset1:165
	;; [unrolled: 1-line block ×4, first 2 shown]
	s_waitcnt lgkmcnt(3)
	v_lshrrev_b32_e32 v20, 16, v2
	v_mul_f16_sdwa v21, v6, v2 dst_sel:DWORD dst_unused:UNUSED_PAD src0_sel:WORD_1 src1_sel:DWORD
	v_lshrrev_b32_e32 v24, 16, v3
	s_waitcnt lgkmcnt(2)
	v_lshrrev_b32_e32 v22, 16, v10
	v_mul_f16_sdwa v23, v7, v10 dst_sel:DWORD dst_unused:UNUSED_PAD src0_sel:WORD_1 src1_sel:DWORD
	v_lshrrev_b32_e32 v25, 16, v11
	v_fma_f16 v21, v6, v20, -v21
	v_mul_f16_sdwa v20, v6, v20 dst_sel:DWORD dst_unused:UNUSED_PAD src0_sel:WORD_1 src1_sel:DWORD
	v_mul_f16_sdwa v32, v4, v24 dst_sel:DWORD dst_unused:UNUSED_PAD src0_sel:WORD_1 src1_sel:DWORD
	v_fma_f16 v23, v7, v22, -v23
	v_mul_f16_sdwa v22, v7, v22 dst_sel:DWORD dst_unused:UNUSED_PAD src0_sel:WORD_1 src1_sel:DWORD
	v_mul_f16_sdwa v33, v5, v25 dst_sel:DWORD dst_unused:UNUSED_PAD src0_sel:WORD_1 src1_sel:DWORD
	v_fmac_f16_e32 v20, v6, v2
	v_mul_f16_sdwa v2, v4, v3 dst_sel:DWORD dst_unused:UNUSED_PAD src0_sel:WORD_1 src1_sel:DWORD
	v_mul_f16_sdwa v6, v5, v11 dst_sel:DWORD dst_unused:UNUSED_PAD src0_sel:WORD_1 src1_sel:DWORD
	v_fmac_f16_e32 v32, v4, v3
	v_fmac_f16_e32 v22, v7, v10
	;; [unrolled: 1-line block ×3, first 2 shown]
	v_fma_f16 v24, v4, v24, -v2
	ds_read2_b32 v[2:3], v154 offset0:110 offset1:191
	v_fma_f16 v25, v5, v25, -v6
	s_waitcnt lgkmcnt(2)
	v_lshrrev_b32_e32 v6, 16, v12
	v_mul_f16_sdwa v7, v42, v12 dst_sel:DWORD dst_unused:UNUSED_PAD src0_sel:WORD_1 src1_sel:DWORD
	ds_read2_b32 v[4:5], v149 offset0:152 offset1:233
	s_waitcnt lgkmcnt(2)
	v_lshrrev_b32_e32 v10, 16, v14
	v_mul_f16_sdwa v11, v43, v14 dst_sel:DWORD dst_unused:UNUSED_PAD src0_sel:WORD_1 src1_sel:DWORD
	v_mul_f16_sdwa v37, v42, v6 dst_sel:DWORD dst_unused:UNUSED_PAD src0_sel:WORD_1 src1_sel:DWORD
	v_fma_f16 v36, v42, v6, -v7
	v_lshrrev_b32_e32 v6, 16, v13
	v_lshrrev_b32_e32 v7, 16, v15
	v_fma_f16 v40, v43, v10, -v11
	v_mul_f16_sdwa v41, v43, v10 dst_sel:DWORD dst_unused:UNUSED_PAD src0_sel:WORD_1 src1_sel:DWORD
	v_fmac_f16_e32 v37, v42, v12
	v_mul_f16_sdwa v12, v46, v6 dst_sel:DWORD dst_unused:UNUSED_PAD src0_sel:WORD_1 src1_sel:DWORD
	v_mul_f16_sdwa v42, v47, v7 dst_sel:DWORD dst_unused:UNUSED_PAD src0_sel:WORD_1 src1_sel:DWORD
	;; [unrolled: 1-line block ×4, first 2 shown]
	v_fmac_f16_e32 v41, v43, v14
	v_fmac_f16_e32 v12, v46, v13
	;; [unrolled: 1-line block ×3, first 2 shown]
	v_fma_f16 v13, v46, v6, -v10
	v_fma_f16 v14, v47, v7, -v11
	s_waitcnt lgkmcnt(1)
	v_lshrrev_b32_e32 v15, 16, v2
	v_mul_f16_sdwa v43, v38, v2 dst_sel:DWORD dst_unused:UNUSED_PAD src0_sel:WORD_1 src1_sel:DWORD
	ds_read2_b32 v[6:7], v137 offset0:16 offset1:97
	ds_read2_b32 v[10:11], v147 offset0:58 offset1:139
	s_waitcnt lgkmcnt(2)
	v_lshrrev_b32_e32 v44, 16, v4
	v_mul_f16_sdwa v45, v39, v4 dst_sel:DWORD dst_unused:UNUSED_PAD src0_sel:WORD_1 src1_sel:DWORD
	v_fma_f16 v43, v38, v15, -v43
	v_mul_f16_sdwa v15, v38, v15 dst_sel:DWORD dst_unused:UNUSED_PAD src0_sel:WORD_1 src1_sel:DWORD
	v_lshrrev_b32_e32 v46, 16, v3
	v_lshrrev_b32_e32 v47, 16, v5
	v_fma_f16 v45, v39, v44, -v45
	v_mul_f16_sdwa v44, v39, v44 dst_sel:DWORD dst_unused:UNUSED_PAD src0_sel:WORD_1 src1_sel:DWORD
	v_fmac_f16_e32 v15, v38, v2
	v_mul_f16_sdwa v38, v34, v46 dst_sel:DWORD dst_unused:UNUSED_PAD src0_sel:WORD_1 src1_sel:DWORD
	v_mul_f16_sdwa v2, v34, v3 dst_sel:DWORD dst_unused:UNUSED_PAD src0_sel:WORD_1 src1_sel:DWORD
	;; [unrolled: 1-line block ×3, first 2 shown]
	v_fmac_f16_e32 v44, v39, v4
	v_mul_f16_sdwa v4, v35, v5 dst_sel:DWORD dst_unused:UNUSED_PAD src0_sel:WORD_1 src1_sel:DWORD
	v_fmac_f16_e32 v38, v34, v3
	v_fma_f16 v34, v34, v46, -v2
	ds_read2_b32 v[2:3], v153 offset0:50 offset1:131
	v_fmac_f16_e32 v48, v35, v5
	v_fma_f16 v35, v35, v47, -v4
	s_waitcnt lgkmcnt(2)
	v_lshrrev_b32_e32 v39, 16, v6
	v_mul_f16_sdwa v46, v30, v6 dst_sel:DWORD dst_unused:UNUSED_PAD src0_sel:WORD_1 src1_sel:DWORD
	s_waitcnt lgkmcnt(1)
	v_lshrrev_b32_e32 v47, 16, v10
	v_lshrrev_b32_e32 v50, 16, v7
	ds_read2_b32 v[4:5], v131 offset0:92 offset1:173
	v_mul_f16_sdwa v49, v31, v10 dst_sel:DWORD dst_unused:UNUSED_PAD src0_sel:WORD_1 src1_sel:DWORD
	v_fma_f16 v46, v30, v39, -v46
	v_mul_f16_sdwa v39, v30, v39 dst_sel:DWORD dst_unused:UNUSED_PAD src0_sel:WORD_1 src1_sel:DWORD
	v_mul_f16_sdwa v51, v31, v47 dst_sel:DWORD dst_unused:UNUSED_PAD src0_sel:WORD_1 src1_sel:DWORD
	;; [unrolled: 1-line block ×3, first 2 shown]
	v_fma_f16 v47, v31, v47, -v49
	v_lshrrev_b32_e32 v49, 16, v11
	v_fmac_f16_e32 v39, v30, v6
	v_fmac_f16_e32 v51, v31, v10
	;; [unrolled: 1-line block ×3, first 2 shown]
	v_mul_f16_sdwa v10, v16, v7 dst_sel:DWORD dst_unused:UNUSED_PAD src0_sel:WORD_1 src1_sel:DWORD
	ds_read2_b32 v[6:7], v148 offset1:81
	v_mul_f16_sdwa v30, v17, v49 dst_sel:DWORD dst_unused:UNUSED_PAD src0_sel:WORD_1 src1_sel:DWORD
	v_mul_f16_sdwa v31, v17, v11 dst_sel:DWORD dst_unused:UNUSED_PAD src0_sel:WORD_1 src1_sel:DWORD
	s_waitcnt lgkmcnt(2)
	v_lshrrev_b32_e32 v53, 16, v2
	v_mul_f16_sdwa v60, v18, v2 dst_sel:DWORD dst_unused:UNUSED_PAD src0_sel:WORD_1 src1_sel:DWORD
	v_fma_f16 v16, v16, v50, -v10
	v_fmac_f16_e32 v30, v17, v11
	v_fma_f16 v17, v17, v49, -v31
	s_waitcnt lgkmcnt(1)
	v_lshrrev_b32_e32 v10, 16, v4
	v_fma_f16 v31, v18, v53, -v60
	v_lshrrev_b32_e32 v11, 16, v3
	v_lshrrev_b32_e32 v50, 16, v5
	v_mul_f16_sdwa v53, v18, v53 dst_sel:DWORD dst_unused:UNUSED_PAD src0_sel:WORD_1 src1_sel:DWORD
	v_mul_f16_sdwa v60, v19, v10 dst_sel:DWORD dst_unused:UNUSED_PAD src0_sel:WORD_1 src1_sel:DWORD
	;; [unrolled: 1-line block ×5, first 2 shown]
	v_fmac_f16_e32 v53, v18, v2
	v_mul_f16_sdwa v2, v8, v3 dst_sel:DWORD dst_unused:UNUSED_PAD src0_sel:WORD_1 src1_sel:DWORD
	v_fmac_f16_e32 v60, v19, v4
	v_fmac_f16_e32 v61, v8, v3
	;; [unrolled: 1-line block ×3, first 2 shown]
	v_mul_f16_sdwa v4, v9, v5 dst_sel:DWORD dst_unused:UNUSED_PAD src0_sel:WORD_1 src1_sel:DWORD
	s_waitcnt lgkmcnt(0)
	v_lshrrev_b32_e32 v5, 16, v6
	v_add_f16_e32 v3, v20, v22
	v_fma_f16 v18, v8, v11, -v2
	v_add_f16_e32 v2, v21, v23
	v_fma_f16 v49, v19, v10, -v49
	v_add_f16_e32 v8, v6, v20
	v_add_f16_e32 v10, v5, v21
	v_fma_f16 v6, -0.5, v3, v6
	v_sub_f16_e32 v3, v21, v23
	v_fmac_f16_e32 v5, -0.5, v2
	v_sub_f16_e32 v2, v20, v22
	v_add_f16_e32 v8, v8, v22
	v_lshrrev_b32_e32 v19, 16, v7
	v_fmamk_f16 v11, v3, 0xbaee, v6
	v_fmac_f16_e32 v6, 0x3aee, v3
	v_fmamk_f16 v22, v2, 0x3aee, v5
	v_fmac_f16_e32 v5, 0xbaee, v2
	ds_read2_b32 v[2:3], v148 offset0:162 offset1:243
	v_add_f16_e32 v20, v7, v32
	v_add_f16_e32 v21, v19, v24
	;; [unrolled: 1-line block ×3, first 2 shown]
	v_pack_b32_f16 v22, v11, v22
	v_pack_b32_f16 v6, v6, v5
	v_add_f16_e32 v20, v20, v33
	v_add_f16_e32 v21, v21, v25
	v_fma_f16 v23, v9, v50, -v4
	v_pack_b32_f16 v50, v8, v10
	ds_read2_b32 v[4:5], v143 offset0:68 offset1:149
	ds_read2_b32 v[8:9], v157 offset0:102 offset1:183
	;; [unrolled: 1-line block ×3, first 2 shown]
	s_waitcnt lgkmcnt(0)
	v_pack_b32_f16 v20, v20, v21
	v_add_f16_e32 v21, v32, v33
	s_barrier
	buffer_gl0_inv
	ds_write_b32 v148, v22 offset:1080
	v_add_f16_e32 v22, v24, v25
	v_fmac_f16_e32 v7, -0.5, v21
	v_sub_f16_e32 v21, v24, v25
	ds_write_b32 v148, v6 offset:2160
	v_lshrrev_b32_e32 v6, 16, v2
	v_fmac_f16_e32 v19, -0.5, v22
	v_sub_f16_e32 v22, v32, v33
	v_fmamk_f16 v24, v21, 0xbaee, v7
	v_fmac_f16_e32 v7, 0x3aee, v21
	v_add_f16_e32 v21, v6, v36
	v_add_f16_e32 v25, v36, v40
	;; [unrolled: 1-line block ×3, first 2 shown]
	v_sub_f16_e32 v33, v36, v40
	v_add_f16_e32 v36, v2, v37
	v_add_f16_e32 v21, v21, v40
	v_fmac_f16_e32 v6, -0.5, v25
	v_fma_f16 v2, -0.5, v32, v2
	v_sub_f16_e32 v25, v37, v41
	v_add_f16_e32 v32, v36, v41
	v_fmamk_f16 v36, v22, 0x3aee, v19
	v_fmac_f16_e32 v19, 0xbaee, v22
	v_fmamk_f16 v22, v33, 0xbaee, v2
	v_fmamk_f16 v37, v25, 0x3aee, v6
	v_pack_b32_f16 v21, v32, v21
	ds_write2_b32 v148, v50, v20 offset1:81
	v_pack_b32_f16 v7, v7, v19
	v_pack_b32_f16 v19, v24, v36
	;; [unrolled: 1-line block ×3, first 2 shown]
	ds_write_b32 v148, v21 offset:648
	v_add_f16_e32 v21, v12, v42
	v_lshrrev_b32_e32 v22, 16, v3
	v_add_f16_e32 v24, v13, v14
	v_fmac_f16_e32 v2, 0x3aee, v33
	v_fmac_f16_e32 v6, 0xbaee, v25
	v_add_f16_e32 v25, v3, v12
	v_fmac_f16_e32 v3, -0.5, v21
	v_sub_f16_e32 v21, v13, v14
	v_add_f16_e32 v13, v22, v13
	v_fmac_f16_e32 v22, -0.5, v24
	v_sub_f16_e32 v12, v12, v42
	ds_write2_b32 v143, v19, v20 offset0:95 offset1:176
	v_pack_b32_f16 v2, v2, v6
	v_add_f16_e32 v20, v25, v42
	v_add_f16_e32 v13, v13, v14
	v_fmamk_f16 v19, v12, 0x3aee, v22
	v_fmac_f16_e32 v22, 0xbaee, v12
	v_lshrrev_b32_e32 v12, 16, v4
	ds_write2_b32 v156, v7, v2 offset0:109 offset1:190
	v_add_f16_e32 v2, v4, v15
	v_fmamk_f16 v6, v21, 0xbaee, v3
	v_pack_b32_f16 v13, v20, v13
	v_add_f16_e32 v7, v12, v43
	v_fmac_f16_e32 v3, 0x3aee, v21
	v_add_f16_e32 v2, v2, v44
	v_pack_b32_f16 v6, v6, v19
	v_add_f16_e32 v14, v5, v38
	v_add_f16_e32 v7, v7, v45
	ds_write_b32 v161, v13
	v_lshrrev_b32_e32 v13, 16, v5
	v_add_f16_e32 v20, v38, v48
	v_add_f16_e32 v21, v15, v44
	v_pack_b32_f16 v2, v2, v7
	v_add_f16_e32 v7, v43, v45
	ds_write_b32 v161, v6 offset:1080
	v_add_f16_e32 v6, v14, v48
	v_add_f16_e32 v14, v13, v34
	v_sub_f16_e32 v19, v43, v45
	v_fmac_f16_e32 v12, -0.5, v7
	v_add_f16_e32 v7, v34, v35
	v_sub_f16_e32 v15, v15, v44
	v_fmac_f16_e32 v5, -0.5, v20
	v_fma_f16 v4, -0.5, v21, v4
	v_sub_f16_e32 v20, v34, v35
	v_fmac_f16_e32 v13, -0.5, v7
	v_sub_f16_e32 v7, v38, v48
	v_pack_b32_f16 v3, v3, v22
	v_fmamk_f16 v21, v19, 0xbaee, v4
	v_fmamk_f16 v22, v15, 0x3aee, v12
	;; [unrolled: 1-line block ×4, first 2 shown]
	v_fmac_f16_e32 v5, 0x3aee, v20
	v_fmac_f16_e32 v13, 0xbaee, v7
	v_fmac_f16_e32 v4, 0x3aee, v19
	v_fmac_f16_e32 v12, 0xbaee, v15
	v_add_f16_e32 v14, v14, v35
	v_pack_b32_f16 v7, v21, v22
	v_pack_b32_f16 v5, v5, v13
	v_add_f16_e32 v13, v16, v17
	v_pack_b32_f16 v4, v4, v12
	v_pack_b32_f16 v6, v6, v14
	;; [unrolled: 1-line block ×3, first 2 shown]
	ds_write_b32 v161, v3 offset:2160
	ds_write2_b32 v140, v2, v6 offset0:96 offset1:177
	ds_write2_b32 v154, v7, v14 offset0:110 offset1:191
	v_add_f16_e32 v2, v39, v51
	ds_write2_b32 v137, v4, v5 offset0:124 offset1:205
	v_lshrrev_b32_e32 v3, 16, v8
	v_add_f16_e32 v4, v46, v47
	v_sub_f16_e32 v6, v46, v47
	v_fma_f16 v2, -0.5, v2, v8
	v_add_f16_e32 v5, v8, v39
	v_add_f16_e32 v7, v3, v46
	v_fmac_f16_e32 v3, -0.5, v4
	v_sub_f16_e32 v4, v39, v51
	v_fmamk_f16 v8, v6, 0xbaee, v2
	v_fmac_f16_e32 v2, 0x3aee, v6
	v_add_f16_e32 v6, v7, v47
	v_add_f16_e32 v12, v52, v30
	v_fmamk_f16 v7, v4, 0x3aee, v3
	v_fmac_f16_e32 v3, 0xbaee, v4
	v_lshrrev_b32_e32 v4, 16, v9
	v_add_f16_e32 v14, v9, v52
	v_fmac_f16_e32 v9, -0.5, v12
	v_sub_f16_e32 v12, v16, v17
	v_add_f16_e32 v19, v31, v49
	v_add_f16_e32 v15, v4, v16
	v_fmac_f16_e32 v4, -0.5, v13
	v_sub_f16_e32 v13, v52, v30
	v_fmamk_f16 v16, v12, 0xbaee, v9
	v_fmac_f16_e32 v9, 0x3aee, v12
	v_add_f16_e32 v12, v15, v17
	v_add_f16_e32 v17, v53, v60
	v_fmamk_f16 v15, v13, 0x3aee, v4
	v_fmac_f16_e32 v4, 0xbaee, v13
	v_lshrrev_b32_e32 v13, 16, v10
	v_add_f16_e32 v20, v10, v53
	v_fma_f16 v10, -0.5, v17, v10
	v_sub_f16_e32 v17, v31, v49
	v_add_f16_e32 v5, v5, v51
	v_add_f16_e32 v21, v13, v31
	v_fmac_f16_e32 v13, -0.5, v19
	v_sub_f16_e32 v19, v53, v60
	v_fmamk_f16 v22, v17, 0xbaee, v10
	v_fmac_f16_e32 v10, 0x3aee, v17
	v_add_f16_e32 v17, v21, v49
	v_add_f16_e32 v24, v61, v62
	v_fmamk_f16 v21, v19, 0x3aee, v13
	v_fmac_f16_e32 v13, 0xbaee, v19
	v_lshrrev_b32_e32 v19, 16, v11
	v_add_f16_e32 v14, v14, v30
	v_add_f16_e32 v25, v18, v23
	;; [unrolled: 1-line block ×3, first 2 shown]
	v_fmac_f16_e32 v11, -0.5, v24
	v_sub_f16_e32 v24, v18, v23
	v_add_f16_e32 v18, v19, v18
	v_pack_b32_f16 v5, v5, v6
	v_fmac_f16_e32 v19, -0.5, v25
	v_add_f16_e32 v25, v30, v62
	v_sub_f16_e32 v30, v61, v62
	v_pack_b32_f16 v6, v8, v7
	v_add_f16_e32 v20, v20, v60
	v_pack_b32_f16 v2, v2, v3
	v_pack_b32_f16 v3, v14, v12
	v_add_f16_e32 v7, v18, v23
	ds_write_b32 v172, v5
	ds_write_b32 v172, v6 offset:1080
	v_pack_b32_f16 v5, v16, v15
	v_fmamk_f16 v31, v24, 0xbaee, v11
	v_fmamk_f16 v8, v30, 0x3aee, v19
	v_pack_b32_f16 v4, v9, v4
	v_fmac_f16_e32 v11, 0x3aee, v24
	v_fmac_f16_e32 v19, 0xbaee, v30
	v_pack_b32_f16 v6, v20, v17
	ds_write_b32 v172, v2 offset:2160
	ds_write_b32 v175, v3 offset:6480
	;; [unrolled: 1-line block ×5, first 2 shown]
	v_pack_b32_f16 v2, v22, v21
	v_pack_b32_f16 v3, v10, v13
	;; [unrolled: 1-line block ×5, first 2 shown]
	ds_write_b32 v174, v2 offset:7560
	ds_write_b32 v174, v3 offset:8640
	;; [unrolled: 1-line block ×5, first 2 shown]
	s_waitcnt lgkmcnt(0)
	s_barrier
	buffer_gl0_inv
	ds_read2_b32 v[2:3], v140 offset0:42 offset1:123
	ds_read2_b32 v[4:5], v152 offset0:84 offset1:165
	;; [unrolled: 1-line block ×6, first 2 shown]
	s_waitcnt lgkmcnt(5)
	v_lshrrev_b32_e32 v14, 16, v2
	s_waitcnt lgkmcnt(4)
	v_lshrrev_b32_e32 v15, 16, v4
	v_lshrrev_b32_e32 v16, 16, v3
	v_mul_f16_sdwa v20, v28, v2 dst_sel:DWORD dst_unused:UNUSED_PAD src0_sel:WORD_1 src1_sel:DWORD
	v_mul_f16_sdwa v22, v29, v4 dst_sel:DWORD dst_unused:UNUSED_PAD src0_sel:WORD_1 src1_sel:DWORD
	;; [unrolled: 1-line block ×3, first 2 shown]
	v_lshrrev_b32_e32 v17, 16, v5
	s_waitcnt lgkmcnt(3)
	v_lshrrev_b32_e32 v18, 16, v6
	v_fma_f16 v14, v28, v14, -v20
	v_mul_f16_sdwa v20, v29, v15 dst_sel:DWORD dst_unused:UNUSED_PAD src0_sel:WORD_1 src1_sel:DWORD
	v_fma_f16 v15, v29, v15, -v22
	v_mul_f16_sdwa v22, v26, v16 dst_sel:DWORD dst_unused:UNUSED_PAD src0_sel:WORD_1 src1_sel:DWORD
	v_fmac_f16_e32 v23, v28, v2
	v_mul_f16_sdwa v2, v26, v3 dst_sel:DWORD dst_unused:UNUSED_PAD src0_sel:WORD_1 src1_sel:DWORD
	s_waitcnt lgkmcnt(2)
	v_lshrrev_b32_e32 v19, 16, v8
	v_mul_f16_sdwa v25, v27, v17 dst_sel:DWORD dst_unused:UNUSED_PAD src0_sel:WORD_1 src1_sel:DWORD
	v_fmac_f16_e32 v22, v26, v3
	v_mul_f16_sdwa v3, v27, v5 dst_sel:DWORD dst_unused:UNUSED_PAD src0_sel:WORD_1 src1_sel:DWORD
	v_fma_f16 v16, v26, v16, -v2
	v_mul_f16_sdwa v26, v54, v18 dst_sel:DWORD dst_unused:UNUSED_PAD src0_sel:WORD_1 src1_sel:DWORD
	v_mul_f16_sdwa v2, v54, v6 dst_sel:DWORD dst_unused:UNUSED_PAD src0_sel:WORD_1 src1_sel:DWORD
	v_lshrrev_b32_e32 v21, 16, v7
	v_fma_f16 v17, v27, v17, -v3
	v_mul_f16_sdwa v3, v55, v8 dst_sel:DWORD dst_unused:UNUSED_PAD src0_sel:WORD_1 src1_sel:DWORD
	v_lshrrev_b32_e32 v24, 16, v9
	v_fmac_f16_e32 v20, v29, v4
	v_fmac_f16_e32 v25, v27, v5
	v_mul_f16_sdwa v27, v55, v19 dst_sel:DWORD dst_unused:UNUSED_PAD src0_sel:WORD_1 src1_sel:DWORD
	v_fmac_f16_e32 v26, v54, v6
	v_fma_f16 v18, v54, v18, -v2
	v_mul_f16_sdwa v4, v56, v7 dst_sel:DWORD dst_unused:UNUSED_PAD src0_sel:WORD_1 src1_sel:DWORD
	v_fma_f16 v19, v55, v19, -v3
	ds_read2_b32 v[2:3], v137 offset0:16 offset1:97
	v_mul_f16_sdwa v6, v57, v9 dst_sel:DWORD dst_unused:UNUSED_PAD src0_sel:WORD_1 src1_sel:DWORD
	s_waitcnt lgkmcnt(2)
	v_lshrrev_b32_e32 v29, 16, v12
	v_mul_f16_sdwa v30, v56, v21 dst_sel:DWORD dst_unused:UNUSED_PAD src0_sel:WORD_1 src1_sel:DWORD
	v_mul_f16_sdwa v31, v57, v24 dst_sel:DWORD dst_unused:UNUSED_PAD src0_sel:WORD_1 src1_sel:DWORD
	v_fma_f16 v21, v56, v21, -v4
	ds_read2_b32 v[4:5], v147 offset0:58 offset1:139
	v_fma_f16 v24, v57, v24, -v6
	v_mul_f16_sdwa v6, v65, v12 dst_sel:DWORD dst_unused:UNUSED_PAD src0_sel:WORD_1 src1_sel:DWORD
	s_waitcnt lgkmcnt(2)
	v_lshrrev_b32_e32 v28, 16, v10
	v_fmac_f16_e32 v27, v55, v8
	v_lshrrev_b32_e32 v8, 16, v11
	v_mul_f16_sdwa v33, v65, v29 dst_sel:DWORD dst_unused:UNUSED_PAD src0_sel:WORD_1 src1_sel:DWORD
	v_fma_f16 v29, v65, v29, -v6
	v_mul_f16_sdwa v6, v58, v11 dst_sel:DWORD dst_unused:UNUSED_PAD src0_sel:WORD_1 src1_sel:DWORD
	v_fmac_f16_e32 v30, v56, v7
	v_fmac_f16_e32 v31, v57, v9
	v_mul_f16_sdwa v7, v64, v10 dst_sel:DWORD dst_unused:UNUSED_PAD src0_sel:WORD_1 src1_sel:DWORD
	v_mul_f16_sdwa v32, v64, v28 dst_sel:DWORD dst_unused:UNUSED_PAD src0_sel:WORD_1 src1_sel:DWORD
	v_lshrrev_b32_e32 v9, 16, v13
	v_mul_f16_sdwa v34, v58, v8 dst_sel:DWORD dst_unused:UNUSED_PAD src0_sel:WORD_1 src1_sel:DWORD
	v_fma_f16 v35, v58, v8, -v6
	v_mul_f16_sdwa v8, v59, v13 dst_sel:DWORD dst_unused:UNUSED_PAD src0_sel:WORD_1 src1_sel:DWORD
	v_fma_f16 v28, v64, v28, -v7
	v_fmac_f16_e32 v32, v64, v10
	v_fmac_f16_e32 v33, v65, v12
	v_mul_f16_sdwa v12, v59, v9 dst_sel:DWORD dst_unused:UNUSED_PAD src0_sel:WORD_1 src1_sel:DWORD
	s_waitcnt lgkmcnt(1)
	v_lshrrev_b32_e32 v10, 16, v2
	ds_read2_b32 v[6:7], v153 offset0:50 offset1:131
	v_lshrrev_b32_e32 v36, 16, v3
	v_fma_f16 v37, v59, v9, -v8
	ds_read2_b32 v[8:9], v131 offset0:92 offset1:173
	v_fmac_f16_e32 v34, v58, v11
	s_waitcnt lgkmcnt(2)
	v_lshrrev_b32_e32 v11, 16, v4
	v_fmac_f16_e32 v12, v59, v13
	v_mul_f16_sdwa v13, v68, v2 dst_sel:DWORD dst_unused:UNUSED_PAD src0_sel:WORD_1 src1_sel:DWORD
	v_mul_f16_sdwa v38, v69, v4 dst_sel:DWORD dst_unused:UNUSED_PAD src0_sel:WORD_1 src1_sel:DWORD
	;; [unrolled: 1-line block ×5, first 2 shown]
	v_fma_f16 v13, v68, v10, -v13
	v_lshrrev_b32_e32 v10, 16, v5
	v_fma_f16 v38, v69, v11, -v38
	v_mul_f16_sdwa v11, v66, v3 dst_sel:DWORD dst_unused:UNUSED_PAD src0_sel:WORD_1 src1_sel:DWORD
	v_fmac_f16_e32 v39, v68, v2
	v_fmac_f16_e32 v41, v66, v3
	ds_read2_b32 v[2:3], v148 offset1:81
	v_fmac_f16_e32 v40, v69, v4
	v_mul_f16_sdwa v42, v67, v10 dst_sel:DWORD dst_unused:UNUSED_PAD src0_sel:WORD_1 src1_sel:DWORD
	v_mul_f16_sdwa v4, v67, v5 dst_sel:DWORD dst_unused:UNUSED_PAD src0_sel:WORD_1 src1_sel:DWORD
	v_fma_f16 v36, v66, v36, -v11
	s_waitcnt lgkmcnt(2)
	v_lshrrev_b32_e32 v11, 16, v6
	s_waitcnt lgkmcnt(1)
	v_lshrrev_b32_e32 v45, 16, v9
	v_fmac_f16_e32 v42, v67, v5
	v_fma_f16 v44, v67, v10, -v4
	v_lshrrev_b32_e32 v4, 16, v8
	v_mul_f16_sdwa v5, v73, v8 dst_sel:DWORD dst_unused:UNUSED_PAD src0_sel:WORD_1 src1_sel:DWORD
	v_lshrrev_b32_e32 v10, 16, v7
	v_mul_f16_sdwa v46, v72, v11 dst_sel:DWORD dst_unused:UNUSED_PAD src0_sel:WORD_1 src1_sel:DWORD
	v_mul_f16_sdwa v43, v72, v6 dst_sel:DWORD dst_unused:UNUSED_PAD src0_sel:WORD_1 src1_sel:DWORD
	;; [unrolled: 1-line block ×3, first 2 shown]
	v_fma_f16 v47, v73, v4, -v5
	v_mul_f16_sdwa v4, v74, v7 dst_sel:DWORD dst_unused:UNUSED_PAD src0_sel:WORD_1 src1_sel:DWORD
	v_mul_f16_sdwa v5, v75, v9 dst_sel:DWORD dst_unused:UNUSED_PAD src0_sel:WORD_1 src1_sel:DWORD
	;; [unrolled: 1-line block ×4, first 2 shown]
	v_fmac_f16_e32 v46, v72, v6
	v_fma_f16 v51, v74, v10, -v4
	s_waitcnt lgkmcnt(0)
	v_lshrrev_b32_e32 v6, 16, v2
	v_add_f16_e32 v4, v14, v15
	v_fma_f16 v45, v75, v45, -v5
	v_add_f16_e32 v5, v2, v23
	v_fmac_f16_e32 v48, v73, v8
	v_fmac_f16_e32 v49, v74, v7
	;; [unrolled: 1-line block ×3, first 2 shown]
	v_add_f16_e32 v7, v23, v20
	v_add_f16_e32 v8, v6, v14
	v_fmac_f16_e32 v6, -0.5, v4
	v_add_f16_e32 v9, v5, v20
	ds_read2_b32 v[4:5], v148 offset0:162 offset1:243
	v_fma_f16 v2, -0.5, v7, v2
	v_sub_f16_e32 v7, v14, v15
	v_sub_f16_e32 v10, v23, v20
	v_lshrrev_b32_e32 v14, 16, v3
	v_fma_f16 v43, v72, v11, -v43
	v_add_f16_e32 v8, v8, v15
	v_fmamk_f16 v11, v7, 0xbaee, v2
	v_fmac_f16_e32 v2, 0x3aee, v7
	v_add_f16_e32 v7, v3, v22
	v_add_f16_e32 v20, v14, v16
	v_fmamk_f16 v15, v10, 0x3aee, v6
	v_fmac_f16_e32 v6, 0xbaee, v10
	v_add_f16_e32 v52, v26, v27
	v_add_f16_e32 v7, v7, v25
	;; [unrolled: 1-line block ×3, first 2 shown]
	v_pack_b32_f16 v15, v11, v15
	v_add_f16_e32 v11, v22, v25
	v_sub_f16_e32 v22, v22, v25
	v_sub_f16_e32 v53, v26, v27
	v_pack_b32_f16 v23, v7, v10
	v_add_f16_e32 v10, v16, v17
	v_fmac_f16_e32 v3, -0.5, v11
	v_sub_f16_e32 v16, v16, v17
	s_waitcnt lgkmcnt(0)
	v_lshrrev_b32_e32 v17, 16, v4
	v_add_f16_e32 v11, v18, v19
	v_fmac_f16_e32 v14, -0.5, v10
	v_fma_f16 v52, -0.5, v52, v4
	v_pack_b32_f16 v20, v9, v8
	v_add_f16_e32 v25, v17, v18
	v_fmac_f16_e32 v17, -0.5, v11
	v_sub_f16_e32 v18, v18, v19
	v_pack_b32_f16 v2, v2, v6
	ds_read2_b32 v[6:7], v143 offset0:68 offset1:149
	ds_read2_b32 v[8:9], v157 offset0:102 offset1:183
	v_fmamk_f16 v54, v16, 0xbaee, v3
	v_fmamk_f16 v55, v22, 0x3aee, v14
	;; [unrolled: 1-line block ×4, first 2 shown]
	ds_read2_b32 v[10:11], v156 offset0:136 offset1:217
	ds_write_b32 v148, v15 offset:3240
	v_fmac_f16_e32 v3, 0x3aee, v16
	v_fmac_f16_e32 v14, 0xbaee, v22
	v_pack_b32_f16 v15, v54, v55
	v_pack_b32_f16 v16, v56, v57
	v_add_f16_e32 v4, v4, v26
	ds_write_b32 v148, v2 offset:6480
	ds_write2_b32 v148, v20, v23 offset1:81
	v_pack_b32_f16 v2, v3, v14
	v_add_f16_e32 v14, v30, v31
	ds_write2_b32 v140, v15, v16 offset0:123 offset1:204
	v_lshrrev_b32_e32 v15, 16, v5
	v_add_f16_e32 v3, v4, v27
	v_fmac_f16_e32 v52, 0x3aee, v18
	v_add_f16_e32 v4, v25, v19
	v_fmac_f16_e32 v17, 0xbaee, v53
	v_add_f16_e32 v16, v21, v24
	v_add_f16_e32 v18, v5, v30
	v_fmac_f16_e32 v5, -0.5, v14
	v_sub_f16_e32 v14, v21, v24
	v_add_f16_e32 v19, v15, v21
	s_waitcnt lgkmcnt(6)
	v_lshrrev_b32_e32 v21, 16, v6
	v_add_f16_e32 v22, v32, v33
	v_add_f16_e32 v23, v6, v32
	v_fmamk_f16 v20, v14, 0xbaee, v5
	v_fmac_f16_e32 v5, 0x3aee, v14
	v_add_f16_e32 v14, v19, v24
	v_add_f16_e32 v24, v21, v28
	v_fma_f16 v6, -0.5, v22, v6
	v_sub_f16_e32 v22, v28, v29
	v_pack_b32_f16 v17, v52, v17
	v_fmac_f16_e32 v15, -0.5, v16
	v_sub_f16_e32 v16, v30, v31
	v_add_f16_e32 v27, v7, v34
	v_fmamk_f16 v25, v22, 0xbaee, v6
	v_fmac_f16_e32 v6, 0x3aee, v22
	v_add_f16_e32 v22, v24, v29
	v_lshrrev_b32_e32 v24, 16, v7
	ds_write2_b32 v152, v2, v17 offset0:165 offset1:246
	v_add_f16_e32 v17, v35, v37
	v_add_f16_e32 v18, v18, v31
	v_fmamk_f16 v19, v16, 0x3aee, v15
	v_fmac_f16_e32 v15, 0xbaee, v16
	v_add_f16_e32 v16, v28, v29
	v_add_f16_e32 v26, v34, v12
	;; [unrolled: 1-line block ×3, first 2 shown]
	v_fmac_f16_e32 v24, -0.5, v17
	v_add_f16_e32 v17, v27, v12
	v_sub_f16_e32 v12, v34, v12
	s_waitcnt lgkmcnt(6)
	v_lshrrev_b32_e32 v27, 16, v8
	v_pack_b32_f16 v3, v3, v4
	v_pack_b32_f16 v4, v18, v14
	v_add_f16_e32 v18, v39, v40
	v_fmamk_f16 v14, v12, 0x3aee, v24
	v_fmac_f16_e32 v24, 0xbaee, v12
	v_add_f16_e32 v12, v13, v38
	v_fmac_f16_e32 v21, -0.5, v16
	v_add_f16_e32 v16, v23, v33
	v_sub_f16_e32 v23, v32, v33
	v_fmac_f16_e32 v7, -0.5, v26
	v_sub_f16_e32 v26, v35, v37
	ds_write2_b32 v148, v3, v4 offset0:162 offset1:243
	v_add_f16_e32 v3, v8, v39
	v_fma_f16 v4, -0.5, v18, v8
	v_sub_f16_e32 v8, v13, v38
	v_add_f16_e32 v13, v27, v13
	v_fmac_f16_e32 v27, -0.5, v12
	v_sub_f16_e32 v18, v39, v40
	v_fmamk_f16 v2, v23, 0x3aee, v21
	v_fmac_f16_e32 v21, 0xbaee, v23
	v_fmamk_f16 v23, v26, 0xbaee, v7
	v_fmac_f16_e32 v7, 0x3aee, v26
	v_add_f16_e32 v26, v28, v37
	v_lshrrev_b32_e32 v12, 16, v9
	v_fmamk_f16 v28, v8, 0xbaee, v4
	v_fmac_f16_e32 v4, 0x3aee, v8
	v_add_f16_e32 v8, v41, v42
	v_fmamk_f16 v29, v18, 0x3aee, v27
	v_fmac_f16_e32 v27, 0xbaee, v18
	v_add_f16_e32 v18, v36, v44
	v_add_f16_e32 v30, v9, v41
	v_fmac_f16_e32 v9, -0.5, v8
	v_sub_f16_e32 v8, v36, v44
	v_add_f16_e32 v31, v12, v36
	v_fmac_f16_e32 v12, -0.5, v18
	v_add_f16_e32 v18, v30, v42
	v_sub_f16_e32 v30, v41, v42
	v_fmamk_f16 v32, v8, 0xbaee, v9
	v_fmac_f16_e32 v9, 0x3aee, v8
	s_waitcnt lgkmcnt(6)
	v_lshrrev_b32_e32 v8, 16, v10
	v_add_f16_e32 v33, v46, v48
	v_fmamk_f16 v34, v30, 0x3aee, v12
	v_fmac_f16_e32 v12, 0xbaee, v30
	v_add_f16_e32 v30, v43, v47
	v_add_f16_e32 v35, v10, v46
	v_fma_f16 v10, -0.5, v33, v10
	v_sub_f16_e32 v33, v43, v47
	v_add_f16_e32 v36, v8, v43
	v_fmac_f16_e32 v8, -0.5, v30
	v_sub_f16_e32 v30, v46, v48
	v_add_f16_e32 v13, v13, v38
	v_fmamk_f16 v37, v33, 0xbaee, v10
	v_fmac_f16_e32 v10, 0x3aee, v33
	v_add_f16_e32 v33, v36, v47
	v_fmamk_f16 v36, v30, 0x3aee, v8
	v_add_f16_e32 v38, v49, v50
	v_fmac_f16_e32 v8, 0xbaee, v30
	v_lshrrev_b32_e32 v30, 16, v11
	v_add_f16_e32 v3, v3, v40
	v_add_f16_e32 v39, v51, v45
	;; [unrolled: 1-line block ×3, first 2 shown]
	v_pack_b32_f16 v19, v20, v19
	v_pack_b32_f16 v2, v25, v2
	v_fmac_f16_e32 v11, -0.5, v38
	v_sub_f16_e32 v38, v51, v45
	v_add_f16_e32 v41, v30, v51
	v_fmac_f16_e32 v30, -0.5, v39
	v_add_f16_e32 v39, v40, v50
	v_sub_f16_e32 v40, v49, v50
	v_add_f16_e32 v31, v31, v44
	v_pack_b32_f16 v5, v5, v15
	ds_write2_b32 v154, v19, v2 offset0:29 offset1:110
	v_pack_b32_f16 v2, v6, v21
	v_pack_b32_f16 v15, v16, v22
	;; [unrolled: 1-line block ×3, first 2 shown]
	v_add_f16_e32 v35, v35, v48
	v_fmamk_f16 v42, v38, 0xbaee, v11
	v_fmac_f16_e32 v11, 0x3aee, v38
	v_add_f16_e32 v38, v41, v45
	v_pack_b32_f16 v14, v23, v14
	v_pack_b32_f16 v3, v3, v13
	;; [unrolled: 1-line block ×3, first 2 shown]
	v_fmamk_f16 v20, v40, 0x3aee, v30
	v_pack_b32_f16 v7, v7, v24
	v_pack_b32_f16 v4, v4, v27
	v_fmac_f16_e32 v30, 0xbaee, v40
	v_pack_b32_f16 v16, v18, v31
	ds_write2_b32 v149, v5, v2 offset0:71 offset1:152
	ds_write2_b32 v143, v15, v6 offset0:68 offset1:149
	;; [unrolled: 1-line block ×5, first 2 shown]
	v_pack_b32_f16 v3, v9, v12
	v_pack_b32_f16 v2, v32, v34
	;; [unrolled: 1-line block ×8, first 2 shown]
	ds_write_b32 v148, v3 offset:8748
	ds_write2_b32 v137, v2, v5 offset0:97 offset1:178
	ds_write2_b32 v156, v4, v7 offset0:136 offset1:217
	ds_write_b32 v148, v8 offset:6156
	ds_write2_b32 v131, v6, v9 offset0:92 offset1:173
	s_waitcnt lgkmcnt(0)
	s_barrier
	buffer_gl0_inv
	ds_read2_b32 v[12:13], v148 offset1:81
	s_waitcnt lgkmcnt(0)
	v_lshrrev_b32_e32 v4, 16, v12
	v_mul_f16_sdwa v5, v151, v12 dst_sel:DWORD dst_unused:UNUSED_PAD src0_sel:WORD_1 src1_sel:DWORD
	v_mul_f16_sdwa v2, v151, v4 dst_sel:DWORD dst_unused:UNUSED_PAD src0_sel:WORD_1 src1_sel:DWORD
	v_fma_f16 v4, v151, v4, -v5
	v_fmac_f16_e32 v2, v151, v12
	v_cvt_f32_f16_e32 v4, v4
	v_cvt_f32_f16_e32 v2, v2
	v_cvt_f64_f32_e32 v[4:5], v4
	v_cvt_f64_f32_e32 v[2:3], v2
	v_mul_f64 v[6:7], v[4:5], s[2:3]
	ds_read2_b32 v[4:5], v148 offset0:162 offset1:243
	v_mul_f64 v[2:3], v[2:3], s[2:3]
	s_waitcnt lgkmcnt(0)
	v_lshrrev_b32_e32 v11, 16, v5
	v_and_or_b32 v6, 0x1ff, v7, v6
	v_lshrrev_b32_e32 v10, 8, v7
	v_bfe_u32 v15, v7, 20, 11
	v_lshrrev_b32_e32 v7, 16, v7
	v_and_or_b32 v2, 0x1ff, v3, v2
	v_lshrrev_b32_e32 v8, 8, v3
	v_bfe_u32 v9, v3, 20, 11
	v_add_nc_u32_e32 v20, 0xfffffc10, v15
	v_lshrrev_b32_e32 v3, 16, v3
	v_cmp_ne_u32_e32 vcc_lo, 0, v2
	v_add_nc_u32_e32 v18, 0xfffffc10, v9
	v_cmp_gt_i32_e64 s1, 1, v20
	v_cndmask_b32_e64 v2, 0, 1, vcc_lo
	v_cmp_ne_u32_e32 vcc_lo, 0, v6
	v_and_or_b32 v12, 0xffe, v8, v2
	v_sub_nc_u32_e32 v2, 0x3f1, v9
	v_cndmask_b32_e64 v6, 0, 1, vcc_lo
	v_or_b32_e32 v8, 0x1000, v12
	v_med3_i32 v2, v2, 0, 13
	v_and_or_b32 v16, 0xffe, v10, v6
	v_mul_f16_sdwa v6, v150, v11 dst_sel:DWORD dst_unused:UNUSED_PAD src0_sel:WORD_1 src1_sel:DWORD
	v_sub_nc_u32_e32 v10, 0x3f1, v15
	v_mul_f16_sdwa v15, v150, v5 dst_sel:DWORD dst_unused:UNUSED_PAD src0_sel:WORD_1 src1_sel:DWORD
	v_lshrrev_b32_e32 v14, v2, v8
	v_or_b32_e32 v17, 0x1000, v16
	v_fmac_f16_e32 v6, v150, v5
	v_med3_i32 v10, v10, 0, 13
	v_fma_f16 v15, v150, v11, -v15
	v_lshlrev_b32_e32 v2, v2, v14
	v_cvt_f32_f16_e32 v6, v6
	v_lshrrev_b32_e32 v19, v10, v17
	v_cmp_ne_u32_e32 vcc_lo, v2, v8
	v_cvt_f64_f32_e32 v[8:9], v6
	v_lshlrev_b32_e32 v6, v10, v19
	v_cndmask_b32_e64 v2, 0, 1, vcc_lo
	v_cmp_gt_i32_e32 vcc_lo, 1, v18
	v_or_b32_e32 v2, v14, v2
	v_lshl_or_b32 v14, v18, 12, v12
	v_cndmask_b32_e32 v2, v14, v2, vcc_lo
	v_cmp_ne_u32_e32 vcc_lo, v6, v17
	v_lshl_or_b32 v17, v20, 12, v16
	v_and_b32_e32 v10, 7, v2
	v_cndmask_b32_e64 v6, 0, 1, vcc_lo
	v_lshrrev_b32_e32 v2, 2, v2
	v_cmp_lt_i32_e32 vcc_lo, 5, v10
	v_or_b32_e32 v14, v19, v6
	v_cmp_eq_u32_e64 s0, 3, v10
	v_mul_f64 v[10:11], v[8:9], s[2:3]
	v_mad_u64_u32 v[5:6], null, s10, v1, 0
	v_cndmask_b32_e64 v8, v17, v14, s1
	s_or_b32 vcc_lo, s0, vcc_lo
	v_cvt_f32_f16_e32 v9, v15
	v_add_co_ci_u32_e32 v17, vcc_lo, 0, v2, vcc_lo
	v_and_b32_e32 v19, 7, v8
	v_cmp_ne_u32_e32 vcc_lo, 0, v12
	v_cvt_f64_f32_e32 v[14:15], v9
	v_mov_b32_e32 v2, v6
	v_lshrrev_b32_e32 v8, 2, v8
	v_cmp_eq_u32_e64 s0, 3, v19
	v_cndmask_b32_e64 v6, 0, 1, vcc_lo
	v_cmp_lt_i32_e32 vcc_lo, 5, v19
	v_cmp_gt_i32_e64 s1, 31, v18
	v_mad_u64_u32 v[1:2], null, s11, v1, v[2:3]
	v_lshl_or_b32 v6, v6, 9, 0x7c00
	s_or_b32 vcc_lo, s0, vcc_lo
	v_cndmask_b32_e64 v9, 0x7c00, v17, s1
	v_add_co_ci_u32_e32 v8, vcc_lo, 0, v8, vcc_lo
	v_cmp_eq_u32_e32 vcc_lo, 0x40f, v18
	v_and_or_b32 v12, 0x1ff, v11, v10
	v_lshrrev_b32_e32 v19, 8, v11
	v_bfe_u32 v21, v11, 20, 11
	s_load_dwordx2 s[0:1], s[4:5], 0x38
	v_cndmask_b32_e32 v6, v9, v6, vcc_lo
	v_cmp_ne_u32_e32 vcc_lo, 0, v16
	ds_read2_b32 v[9:10], v157 offset0:102 offset1:183
	v_mul_f64 v[14:15], v[14:15], s[2:3]
	v_lshrrev_b32_e32 v11, 16, v11
	v_and_or_b32 v22, 0x8000, v3, v6
	v_cndmask_b32_e64 v16, 0, 1, vcc_lo
	v_cmp_gt_i32_e32 vcc_lo, 31, v20
	v_mov_b32_e32 v6, v1
	s_mul_i32 s4, s9, 0x3cc
	s_mul_i32 s5, s8, 0x3cc
	v_lshl_or_b32 v18, v16, 9, 0x7c00
	v_cndmask_b32_e32 v8, 0x7c00, v8, vcc_lo
	v_cmp_ne_u32_e32 vcc_lo, 0, v12
	v_mad_u64_u32 v[16:17], null, s8, v145, 0
	v_cndmask_b32_e64 v12, 0, 1, vcc_lo
	v_cmp_eq_u32_e32 vcc_lo, 0x40f, v20
	v_mov_b32_e32 v2, v17
	v_and_or_b32 v12, 0xffe, v19, v12
	v_sub_nc_u32_e32 v19, 0x3f1, v21
	v_cndmask_b32_e32 v8, v8, v18, vcc_lo
	v_and_or_b32 v14, 0x1ff, v15, v14
	v_mad_u64_u32 v[2:3], null, s9, v145, v[2:3]
	v_med3_i32 v18, v19, 0, 13
	s_waitcnt lgkmcnt(0)
	v_lshrrev_b32_e32 v19, 16, v9
	v_or_b32_e32 v17, 0x1000, v12
	v_cmp_ne_u32_e32 vcc_lo, 0, v14
	v_bfe_u32 v14, v15, 20, 11
	v_mul_f16_sdwa v20, v0, v19 dst_sel:DWORD dst_unused:UNUSED_PAD src0_sel:WORD_1 src1_sel:DWORD
	v_lshrrev_b32_e32 v3, v18, v17
	v_fmac_f16_e32 v20, v0, v9
	v_lshlrev_b32_e32 v1, v18, v3
	v_and_or_b32 v18, 0x8000, v7, v8
	v_cndmask_b32_e64 v7, 0, 1, vcc_lo
	v_lshrrev_b32_e32 v8, 8, v15
	v_cvt_f32_f16_e32 v20, v20
	v_cmp_ne_u32_e32 vcc_lo, v1, v17
	v_sub_nc_u32_e32 v17, 0x3f1, v14
	v_add_nc_u32_e32 v14, 0xfffffc10, v14
	v_and_or_b32 v23, 0xffe, v8, v7
	v_cvt_f64_f32_e32 v[7:8], v20
	v_cndmask_b32_e64 v1, 0, 1, vcc_lo
	v_add_nc_u32_e32 v20, 0xfffffc10, v21
	v_and_b32_e32 v21, 0xffff, v22
	v_or_b32_e32 v22, 0x1000, v23
	v_med3_i32 v24, v17, 0, 13
	v_or_b32_e32 v3, v3, v1
	v_lshl_or_b32 v25, v20, 12, v12
	v_cmp_gt_i32_e32 vcc_lo, 1, v20
	v_mov_b32_e32 v17, v2
	v_lshrrev_b32_e32 v26, v24, v22
	v_lshlrev_b64 v[1:2], 2, v[5:6]
	v_cndmask_b32_e32 v25, v25, v3, vcc_lo
	v_mul_f16_sdwa v3, v0, v9 dst_sel:DWORD dst_unused:UNUSED_PAD src0_sel:WORD_1 src1_sel:DWORD
	v_lshlrev_b64 v[5:6], 2, v[16:17]
	v_lshlrev_b32_e32 v16, v24, v26
	v_lshl_or_b32 v9, v18, 16, v21
	v_add_co_u32 v18, vcc_lo, s0, v1
	v_fma_f16 v0, v0, v19, -v3
	v_and_b32_e32 v17, 7, v25
	v_cmp_ne_u32_e64 s0, v16, v22
	v_add_co_ci_u32_e32 v19, vcc_lo, s1, v2, vcc_lo
	v_mul_f64 v[2:3], v[7:8], s[2:3]
	v_cvt_f32_f16_e32 v0, v0
	v_cmp_lt_i32_e32 vcc_lo, 5, v17
	v_cndmask_b32_e64 v1, 0, 1, s0
	v_cmp_eq_u32_e64 s0, 3, v17
	v_lshl_or_b32 v17, v14, 12, v23
	v_cvt_f64_f32_e32 v[7:8], v0
	v_lshrrev_b32_e32 v0, 2, v25
	v_or_b32_e32 v16, v26, v1
	s_or_b32 vcc_lo, s0, vcc_lo
	v_add_co_ci_u32_e32 v21, vcc_lo, 0, v0, vcc_lo
	v_cmp_ne_u32_e32 vcc_lo, 0, v12
	ds_read2_b32 v[0:1], v156 offset0:136 offset1:217
	v_cndmask_b32_e64 v12, 0, 1, vcc_lo
	v_cmp_gt_i32_e32 vcc_lo, 1, v14
	v_and_or_b32 v2, 0x1ff, v3, v2
	v_lshl_or_b32 v12, v12, 9, 0x7c00
	v_cndmask_b32_e32 v22, v17, v16, vcc_lo
	v_add_co_u32 v16, vcc_lo, v18, v5
	v_add_co_ci_u32_e32 v17, vcc_lo, v19, v6, vcc_lo
	v_and_b32_e32 v5, 7, v22
	v_cmp_gt_i32_e32 vcc_lo, 31, v20
	v_cmp_ne_u32_e64 s0, 0, v2
	v_mul_f64 v[7:8], v[7:8], s[2:3]
	v_lshrrev_b32_e32 v18, 8, v3
	v_bfe_u32 v19, v3, 20, 11
	v_cndmask_b32_e32 v6, 0x7c00, v21, vcc_lo
	v_cmp_lt_i32_e32 vcc_lo, 5, v5
	v_cndmask_b32_e64 v2, 0, 1, s0
	v_cmp_eq_u32_e64 s0, 3, v5
	v_lshrrev_b32_e32 v5, 2, v22
	v_sub_nc_u32_e32 v21, 0x3f1, v19
	v_add_nc_u32_e32 v19, 0xfffffc10, v19
	v_and_or_b32 v18, 0xffe, v18, v2
	s_or_b32 vcc_lo, s0, vcc_lo
	s_waitcnt lgkmcnt(0)
	v_lshrrev_b32_e32 v2, 16, v1
	v_add_co_ci_u32_e32 v5, vcc_lo, 0, v5, vcc_lo
	v_cmp_eq_u32_e32 vcc_lo, 0x40f, v20
	v_or_b32_e32 v24, 0x1000, v18
	v_mul_f16_sdwa v22, v146, v2 dst_sel:DWORD dst_unused:UNUSED_PAD src0_sel:WORD_1 src1_sel:DWORD
	v_med3_i32 v21, v21, 0, 13
	global_store_dword v[16:17], v9, off
	v_cndmask_b32_e32 v12, v6, v12, vcc_lo
	v_cmp_ne_u32_e32 vcc_lo, 0, v23
	v_fmac_f16_e32 v22, v146, v1
	v_lshrrev_b32_e32 v20, v21, v24
	v_and_or_b32 v7, 0x1ff, v8, v7
	v_mul_f16_sdwa v1, v146, v1 dst_sel:DWORD dst_unused:UNUSED_PAD src0_sel:WORD_1 src1_sel:DWORD
	v_cndmask_b32_e64 v6, 0, 1, vcc_lo
	v_cmp_gt_i32_e32 vcc_lo, 31, v14
	v_lshlrev_b32_e32 v21, v21, v20
	v_and_or_b32 v25, 0x8000, v11, v12
	v_fma_f16 v1, v146, v2, -v1
	v_lshrrev_b32_e32 v3, 16, v3
	v_cndmask_b32_e32 v23, 0x7c00, v5, vcc_lo
	v_cvt_f32_f16_e32 v5, v22
	v_lshl_or_b32 v22, v6, 9, 0x7c00
	v_cmp_eq_u32_e32 vcc_lo, 0x40f, v14
	v_cvt_f32_f16_e32 v1, v1
	v_cvt_f64_f32_e32 v[5:6], v5
	v_cndmask_b32_e32 v14, v23, v22, vcc_lo
	v_cmp_ne_u32_e32 vcc_lo, 0, v7
	v_lshrrev_b32_e32 v22, 8, v8
	v_bfe_u32 v23, v8, 20, 11
	v_lshrrev_b32_e32 v8, 16, v8
	v_cndmask_b32_e64 v7, 0, 1, vcc_lo
	v_cmp_ne_u32_e32 vcc_lo, v21, v24
	v_and_or_b32 v22, 0xffe, v22, v7
	v_cndmask_b32_e64 v21, 0, 1, vcc_lo
	v_cmp_gt_i32_e32 vcc_lo, 1, v19
	v_lshrrev_b32_e32 v7, 16, v15
	v_sub_nc_u32_e32 v15, 0x3f1, v23
	v_or_b32_e32 v24, 0x1000, v22
	v_or_b32_e32 v20, v20, v21
	v_lshl_or_b32 v21, v19, 12, v18
	v_and_or_b32 v2, 0x8000, v7, v14
	v_med3_i32 v15, v15, 0, 13
	v_mul_f64 v[11:12], v[5:6], s[2:3]
	v_and_b32_e32 v5, 0xffff, v25
	v_cndmask_b32_e32 v20, v21, v20, vcc_lo
	v_lshrrev_b32_e32 v21, v15, v24
	v_lshl_or_b32 v25, v2, 16, v5
	v_and_b32_e32 v6, 7, v20
	v_cvt_f64_f32_e32 v[1:2], v1
	v_lshrrev_b32_e32 v5, 2, v20
	v_lshlrev_b32_e32 v7, v15, v21
	v_add_nc_u32_e32 v20, 0xfffffc10, v23
	v_cmp_lt_i32_e32 vcc_lo, 5, v6
	v_cmp_eq_u32_e64 s0, 3, v6
	v_cmp_ne_u32_e64 s1, v7, v24
	ds_read2_b32 v[6:7], v155 offset0:76 offset1:157
	v_lshl_or_b32 v14, v20, 12, v22
	s_or_b32 vcc_lo, s0, vcc_lo
	s_mul_hi_u32 s0, s8, 0x3cc
	v_add_co_ci_u32_e32 v5, vcc_lo, 0, v5, vcc_lo
	v_cmp_ne_u32_e32 vcc_lo, 0, v18
	v_cndmask_b32_e64 v9, 0, 1, s1
	v_and_or_b32 v11, 0x1ff, v12, v11
	s_add_i32 s4, s0, s4
	v_cmp_eq_u32_e64 s1, 0x40f, v19
	v_cndmask_b32_e64 v18, 0, 1, vcc_lo
	v_cmp_gt_i32_e32 vcc_lo, 31, v19
	v_or_b32_e32 v9, v21, v9
	v_cndmask_b32_e32 v5, 0x7c00, v5, vcc_lo
	v_cmp_gt_i32_e32 vcc_lo, 1, v20
	s_waitcnt lgkmcnt(0)
	v_lshrrev_b32_e32 v24, 16, v6
	v_cndmask_b32_e32 v9, v14, v9, vcc_lo
	v_mul_f64 v[14:15], v[1:2], s[2:3]
	v_cmp_ne_u32_e32 vcc_lo, 0, v11
	v_lshrrev_b32_e32 v2, 8, v12
	v_lshl_or_b32 v11, v18, 9, 0x7c00
	v_bfe_u32 v18, v12, 20, 11
	v_and_b32_e32 v21, 7, v9
	v_cndmask_b32_e64 v1, 0, 1, vcc_lo
	v_lshrrev_b32_e32 v9, 2, v9
	v_cndmask_b32_e64 v5, v5, v11, s1
	v_lshrrev_b32_e32 v12, 16, v12
	v_cmp_lt_i32_e32 vcc_lo, 5, v21
	v_and_or_b32 v23, 0xffe, v2, v1
	v_sub_nc_u32_e32 v1, 0x3f1, v18
	v_mul_f16_sdwa v2, v144, v24 dst_sel:DWORD dst_unused:UNUSED_PAD src0_sel:WORD_1 src1_sel:DWORD
	v_cmp_eq_u32_e64 s0, 3, v21
	v_add_nc_u32_e32 v18, 0xfffffc10, v18
	v_or_b32_e32 v21, 0x1000, v23
	v_med3_i32 v1, v1, 0, 13
	v_fmac_f16_e32 v2, v144, v6
	s_or_b32 vcc_lo, s0, vcc_lo
	v_mul_f16_sdwa v6, v144, v6 dst_sel:DWORD dst_unused:UNUSED_PAD src0_sel:WORD_1 src1_sel:DWORD
	v_add_co_ci_u32_e32 v9, vcc_lo, 0, v9, vcc_lo
	v_lshrrev_b32_e32 v11, v1, v21
	v_cvt_f32_f16_e32 v2, v2
	v_and_or_b32 v14, 0x1ff, v15, v14
	v_cmp_gt_i32_e32 vcc_lo, 31, v20
	v_lshrrev_b32_e32 v26, 8, v15
	v_lshlrev_b32_e32 v19, v1, v11
	v_cvt_f64_f32_e32 v[1:2], v2
	v_bfe_u32 v27, v15, 20, 11
	v_cndmask_b32_e32 v9, 0x7c00, v9, vcc_lo
	v_cmp_ne_u32_e32 vcc_lo, 0, v14
	v_and_or_b32 v5, 0x8000, v3, v5
	v_fma_f16 v6, v144, v24, -v6
	v_lshrrev_b32_e32 v15, 16, v15
	v_cndmask_b32_e64 v14, 0, 1, vcc_lo
	v_cmp_ne_u32_e32 vcc_lo, 0, v22
	v_and_or_b32 v14, 0xffe, v26, v14
	v_cndmask_b32_e64 v22, 0, 1, vcc_lo
	v_cmp_ne_u32_e32 vcc_lo, v19, v21
	v_sub_nc_u32_e32 v21, 0x3f1, v27
	v_or_b32_e32 v26, 0x1000, v14
	v_lshl_or_b32 v22, v22, 9, 0x7c00
	v_cndmask_b32_e64 v19, 0, 1, vcc_lo
	v_med3_i32 v21, v21, 0, 13
	v_cmp_eq_u32_e32 vcc_lo, 0x40f, v20
	v_mul_f64 v[2:3], v[1:2], s[2:3]
	v_and_b32_e32 v20, 0xffff, v5
	v_or_b32_e32 v11, v11, v19
	v_lshl_or_b32 v19, v18, 12, v23
	v_cndmask_b32_e32 v9, v9, v22, vcc_lo
	v_cmp_gt_i32_e32 vcc_lo, 1, v18
	v_lshrrev_b32_e32 v1, v21, v26
	v_add_nc_u32_e32 v22, 0xfffffc10, v27
	v_cndmask_b32_e32 v11, v19, v11, vcc_lo
	v_and_or_b32 v19, 0x8000, v8, v9
	v_lshlrev_b32_e32 v8, v21, v1
	v_add_co_u32 v5, vcc_lo, v16, s5
	v_cvt_f32_f16_e32 v9, v6
	v_add_co_ci_u32_e32 v6, vcc_lo, s4, v17, vcc_lo
	v_and_b32_e32 v21, 7, v11
	v_cmp_ne_u32_e32 vcc_lo, v8, v26
	v_lshrrev_b32_e32 v11, 2, v11
	v_cvt_f64_f32_e32 v[8:9], v9
	v_and_or_b32 v2, 0x1ff, v3, v2
	v_cmp_eq_u32_e64 s0, 3, v21
	v_cndmask_b32_e64 v16, 0, 1, vcc_lo
	v_cmp_lt_i32_e32 vcc_lo, 5, v21
	v_lshl_or_b32 v19, v19, 16, v20
	v_lshrrev_b32_e32 v24, 8, v3
	v_bfe_u32 v26, v3, 20, 11
	v_or_b32_e32 v1, v1, v16
	s_or_b32 vcc_lo, s0, vcc_lo
	v_lshl_or_b32 v16, v22, 12, v14
	v_add_co_ci_u32_e32 v11, vcc_lo, 0, v11, vcc_lo
	v_cmp_gt_i32_e32 vcc_lo, 1, v22
	v_cndmask_b32_e32 v21, v16, v1, vcc_lo
	v_cmp_ne_u32_e32 vcc_lo, 0, v23
	v_mul_f64 v[16:17], v[8:9], s[2:3]
	v_and_b32_e32 v27, 7, v21
	v_cndmask_b32_e64 v20, 0, 1, vcc_lo
	v_cmp_gt_i32_e32 vcc_lo, 31, v18
	v_lshrrev_b32_e32 v9, 2, v21
	v_sub_nc_u32_e32 v8, 0x3f1, v26
	v_cmp_eq_u32_e64 s0, 3, v27
	v_lshl_or_b32 v20, v20, 9, 0x7c00
	v_cndmask_b32_e32 v11, 0x7c00, v11, vcc_lo
	v_cmp_ne_u32_e32 vcc_lo, 0, v2
	ds_read2_b32 v[1:2], v154 offset0:110 offset1:191
	v_med3_i32 v8, v8, 0, 13
	v_cndmask_b32_e64 v23, 0, 1, vcc_lo
	v_cmp_lt_i32_e32 vcc_lo, 5, v27
	v_and_or_b32 v23, 0xffe, v24, v23
	s_or_b32 vcc_lo, s0, vcc_lo
	v_add_co_ci_u32_e32 v9, vcc_lo, 0, v9, vcc_lo
	v_cmp_ne_u32_e32 vcc_lo, 0, v14
	v_or_b32_e32 v21, 0x1000, v23
	v_and_or_b32 v16, 0x1ff, v17, v16
	v_cndmask_b32_e64 v14, 0, 1, vcc_lo
	v_cmp_eq_u32_e32 vcc_lo, 0x40f, v18
	v_lshrrev_b32_e32 v24, v8, v21
	s_waitcnt lgkmcnt(0)
	v_lshrrev_b32_e32 v18, 16, v2
	v_lshl_or_b32 v14, v14, 9, 0x7c00
	v_cndmask_b32_e32 v11, v11, v20, vcc_lo
	v_cmp_gt_i32_e32 vcc_lo, 31, v22
	v_lshlrev_b32_e32 v8, v8, v24
	v_and_or_b32 v20, 0x8000, v12, v11
	v_cndmask_b32_e32 v9, 0x7c00, v9, vcc_lo
	v_cmp_eq_u32_e32 vcc_lo, 0x40f, v22
	v_mul_f16_sdwa v11, v142, v18 dst_sel:DWORD dst_unused:UNUSED_PAD src0_sel:WORD_1 src1_sel:DWORD
	v_lshrrev_b32_e32 v12, 8, v17
	v_and_b32_e32 v20, 0xffff, v20
	v_cndmask_b32_e32 v14, v9, v14, vcc_lo
	v_cmp_ne_u32_e32 vcc_lo, v8, v21
	v_fmac_f16_e32 v11, v142, v2
	v_add_nc_u32_e32 v21, 0xfffffc10, v26
	v_mul_f16_sdwa v2, v142, v2 dst_sel:DWORD dst_unused:UNUSED_PAD src0_sel:WORD_1 src1_sel:DWORD
	v_and_or_b32 v29, 0x8000, v15, v14
	v_cndmask_b32_e64 v8, 0, 1, vcc_lo
	v_cmp_ne_u32_e32 vcc_lo, 0, v16
	v_cvt_f32_f16_e32 v11, v11
	v_bfe_u32 v16, v17, 20, 11
	v_fma_f16 v2, v142, v18, -v2
	v_or_b32_e32 v22, v24, v8
	v_cndmask_b32_e64 v9, 0, 1, vcc_lo
	v_lshl_or_b32 v24, v21, 12, v23
	v_cmp_gt_i32_e32 vcc_lo, 1, v21
	v_cvt_f32_f16_e32 v2, v2
	v_lshl_or_b32 v18, v29, 16, v20
	v_and_or_b32 v26, 0xffe, v12, v9
	v_cvt_f64_f32_e32 v[8:9], v11
	v_sub_nc_u32_e32 v11, 0x3f1, v16
	v_cndmask_b32_e32 v22, v24, v22, vcc_lo
	v_add_nc_u32_e32 v16, 0xfffffc10, v16
	v_or_b32_e32 v24, 0x1000, v26
	v_lshrrev_b32_e32 v17, 16, v17
	v_med3_i32 v27, v11, 0, 13
	v_and_b32_e32 v14, 7, v22
	v_add_co_u32 v11, vcc_lo, v5, s5
	v_add_co_ci_u32_e32 v12, vcc_lo, s4, v6, vcc_lo
	v_lshrrev_b32_e32 v28, v27, v24
	v_cmp_lt_i32_e32 vcc_lo, 5, v14
	v_cmp_eq_u32_e64 s0, 3, v14
	global_store_dword v[5:6], v25, off
	global_store_dword v[11:12], v19, off
	v_lshlrev_b32_e32 v15, v27, v28
	v_lshrrev_b32_e32 v27, 16, v3
	s_or_b32 vcc_lo, s0, vcc_lo
	v_cmp_ne_u32_e64 s1, v15, v24
	v_cvt_f64_f32_e32 v[14:15], v2
	v_lshrrev_b32_e32 v2, 2, v22
	v_mul_f64 v[5:6], v[8:9], s[2:3]
	v_lshl_or_b32 v9, v16, 12, v26
	v_cndmask_b32_e64 v8, 0, 1, s1
	v_add_co_ci_u32_e32 v2, vcc_lo, 0, v2, vcc_lo
	v_cmp_ne_u32_e32 vcc_lo, 0, v23
	v_or_b32_e32 v8, v28, v8
	v_cndmask_b32_e64 v19, 0, 1, vcc_lo
	v_cmp_gt_i32_e32 vcc_lo, 1, v16
	v_lshl_or_b32 v19, v19, 9, 0x7c00
	v_cndmask_b32_e32 v20, v9, v8, vcc_lo
	v_cmp_gt_i32_e32 vcc_lo, 31, v21
	ds_read2_b32 v[8:9], v153 offset0:50 offset1:131
	v_mul_f64 v[14:15], v[14:15], s[2:3]
	v_and_or_b32 v5, 0x1ff, v6, v5
	v_cndmask_b32_e32 v2, 0x7c00, v2, vcc_lo
	v_add_co_u32 v11, vcc_lo, v11, s5
	v_add_co_ci_u32_e32 v12, vcc_lo, s4, v12, vcc_lo
	v_cmp_eq_u32_e32 vcc_lo, 0x40f, v21
	v_and_b32_e32 v22, 7, v20
	v_lshrrev_b32_e32 v20, 2, v20
	v_bfe_u32 v21, v6, 20, 11
	global_store_dword v[11:12], v18, off
	v_cndmask_b32_e32 v19, v2, v19, vcc_lo
	v_cmp_ne_u32_e32 vcc_lo, 0, v5
	v_cmp_eq_u32_e64 s0, 3, v22
	v_lshrrev_b32_e32 v5, 8, v6
	v_lshrrev_b32_e32 v6, 16, v6
	v_and_or_b32 v19, 0x8000, v27, v19
	v_cndmask_b32_e64 v2, 0, 1, vcc_lo
	v_cmp_lt_i32_e32 vcc_lo, 5, v22
	s_waitcnt lgkmcnt(0)
	v_lshrrev_b32_e32 v22, 16, v8
	v_and_or_b32 v14, 0x1ff, v15, v14
	v_and_or_b32 v5, 0xffe, v5, v2
	s_or_b32 vcc_lo, s0, vcc_lo
	v_sub_nc_u32_e32 v2, 0x3f1, v21
	v_add_co_ci_u32_e32 v20, vcc_lo, 0, v20, vcc_lo
	v_cmp_ne_u32_e32 vcc_lo, 0, v26
	v_mul_f16_sdwa v23, v141, v22 dst_sel:DWORD dst_unused:UNUSED_PAD src0_sel:WORD_1 src1_sel:DWORD
	v_or_b32_e32 v24, 0x1000, v5
	v_med3_i32 v2, v2, 0, 13
	v_cndmask_b32_e64 v25, 0, 1, vcc_lo
	v_cmp_gt_i32_e32 vcc_lo, 31, v16
	v_fmac_f16_e32 v23, v141, v8
	v_lshrrev_b32_e32 v26, v2, v24
	v_mul_f16_sdwa v8, v141, v8 dst_sel:DWORD dst_unused:UNUSED_PAD src0_sel:WORD_1 src1_sel:DWORD
	v_lshl_or_b32 v25, v25, 9, 0x7c00
	v_cndmask_b32_e32 v20, 0x7c00, v20, vcc_lo
	v_cmp_ne_u32_e32 vcc_lo, 0, v14
	v_cvt_f32_f16_e32 v23, v23
	v_lshlrev_b32_e32 v28, v2, v26
	v_fma_f16 v8, v141, v22, -v8
	v_cndmask_b32_e64 v14, 0, 1, vcc_lo
	v_cmp_eq_u32_e32 vcc_lo, 0x40f, v16
	v_cvt_f64_f32_e32 v[2:3], v23
	v_lshrrev_b32_e32 v23, 8, v15
	v_cvt_f32_f16_e32 v8, v8
	v_cndmask_b32_e32 v16, v20, v25, vcc_lo
	v_bfe_u32 v20, v15, 20, 11
	v_cmp_ne_u32_e32 vcc_lo, v28, v24
	v_and_or_b32 v14, 0xffe, v23, v14
	v_add_nc_u32_e32 v24, 0xfffffc10, v21
	v_and_or_b32 v27, 0x8000, v17, v16
	v_sub_nc_u32_e32 v21, 0x3f1, v20
	v_cndmask_b32_e64 v23, 0, 1, vcc_lo
	v_or_b32_e32 v25, 0x1000, v14
	v_cmp_gt_i32_e32 vcc_lo, 1, v24
	v_med3_i32 v21, v21, 0, 13
	v_or_b32_e32 v23, v26, v23
	v_lshl_or_b32 v26, v24, 12, v5
	v_cndmask_b32_e32 v23, v26, v23, vcc_lo
	v_lshrrev_b32_e32 v26, v21, v25
	v_mul_f64 v[16:17], v[2:3], s[2:3]
	v_and_b32_e32 v2, 0xffff, v19
	v_and_b32_e32 v3, 7, v23
	v_lshlrev_b32_e32 v19, v21, v26
	v_lshl_or_b32 v27, v27, 16, v2
	v_cmp_lt_i32_e32 vcc_lo, 5, v3
	v_cmp_ne_u32_e64 s0, v19, v25
	v_cvt_f64_f32_e32 v[18:19], v8
	v_add_nc_u32_e32 v8, 0xfffffc10, v20
	v_lshrrev_b32_e32 v20, 2, v23
	v_cndmask_b32_e64 v21, 0, 1, s0
	v_cmp_eq_u32_e64 s0, 3, v3
	ds_read2_b32 v[2:3], v152 offset0:84 offset1:165
	v_lshl_or_b32 v22, v8, 12, v14
	v_or_b32_e32 v21, v26, v21
	s_or_b32 vcc_lo, s0, vcc_lo
	v_add_co_ci_u32_e32 v23, vcc_lo, 0, v20, vcc_lo
	v_cmp_ne_u32_e32 vcc_lo, 0, v5
	v_and_or_b32 v16, 0x1ff, v17, v16
	v_bfe_u32 v26, v17, 20, 11
	v_cndmask_b32_e64 v5, 0, 1, vcc_lo
	v_cmp_gt_i32_e32 vcc_lo, 1, v8
	v_mul_f64 v[18:19], v[18:19], s[2:3]
	v_lshl_or_b32 v5, v5, 9, 0x7c00
	v_cndmask_b32_e32 v22, v22, v21, vcc_lo
	v_add_co_u32 v20, vcc_lo, v11, s5
	v_add_co_ci_u32_e32 v21, vcc_lo, s4, v12, vcc_lo
	v_cmp_gt_i32_e32 vcc_lo, 31, v24
	v_and_b32_e32 v12, 7, v22
	s_waitcnt lgkmcnt(0)
	v_lshrrev_b32_e32 v25, 16, v3
	global_store_dword v[20:21], v27, off
	v_add_co_u32 v20, s1, v20, s5
	v_cndmask_b32_e32 v11, 0x7c00, v23, vcc_lo
	v_cmp_ne_u32_e32 vcc_lo, 0, v16
	v_lshrrev_b32_e32 v23, 8, v17
	v_cmp_eq_u32_e64 s0, 3, v12
	v_mul_f16_sdwa v28, v139, v25 dst_sel:DWORD dst_unused:UNUSED_PAD src0_sel:WORD_1 src1_sel:DWORD
	v_add_co_ci_u32_e64 v21, s1, s4, v21, s1
	v_cndmask_b32_e64 v16, 0, 1, vcc_lo
	v_cmp_eq_u32_e32 vcc_lo, 0x40f, v24
	v_fmac_f16_e32 v28, v139, v3
	v_and_or_b32 v18, 0x1ff, v19, v18
	v_lshrrev_b32_e32 v29, 8, v19
	v_and_or_b32 v16, 0xffe, v23, v16
	v_cndmask_b32_e32 v5, v11, v5, vcc_lo
	v_cmp_lt_i32_e32 vcc_lo, 5, v12
	v_lshrrev_b32_e32 v12, 2, v22
	v_sub_nc_u32_e32 v11, 0x3f1, v26
	v_or_b32_e32 v22, 0x1000, v16
	v_bfe_u32 v30, v19, 20, 11
	s_or_b32 vcc_lo, s0, vcc_lo
	v_and_or_b32 v5, 0x8000, v6, v5
	v_add_co_ci_u32_e32 v24, vcc_lo, 0, v12, vcc_lo
	v_med3_i32 v23, v11, 0, 13
	v_cmp_ne_u32_e32 vcc_lo, 0, v14
	v_cvt_f32_f16_e32 v11, v28
	v_add_nc_u32_e32 v26, 0xfffffc10, v26
	v_mul_f16_sdwa v3, v139, v3 dst_sel:DWORD dst_unused:UNUSED_PAD src0_sel:WORD_1 src1_sel:DWORD
	v_lshrrev_b32_e32 v28, v23, v22
	v_cndmask_b32_e64 v14, 0, 1, vcc_lo
	v_cmp_gt_i32_e32 vcc_lo, 31, v8
	v_cvt_f64_f32_e32 v[11:12], v11
	v_fma_f16 v3, v139, v25, -v3
	v_lshlrev_b32_e32 v23, v23, v28
	v_lshl_or_b32 v14, v14, 9, 0x7c00
	v_cndmask_b32_e32 v24, 0x7c00, v24, vcc_lo
	v_cmp_ne_u32_e32 vcc_lo, 0, v18
	v_and_b32_e32 v5, 0xffff, v5
	v_cvt_f32_f16_e32 v3, v3
	v_cmp_eq_u32_e64 s1, 0x40f, v26
	v_lshrrev_b32_e32 v17, 16, v17
	v_cndmask_b32_e64 v18, 0, 1, vcc_lo
	v_cmp_ne_u32_e32 vcc_lo, v23, v22
	v_lshrrev_b32_e32 v31, 16, v19
	v_and_or_b32 v18, 0xffe, v29, v18
	v_cndmask_b32_e64 v6, 0, 1, vcc_lo
	v_cmp_eq_u32_e32 vcc_lo, 0x40f, v8
	v_or_b32_e32 v6, v28, v6
	v_cndmask_b32_e32 v8, v24, v14, vcc_lo
	v_sub_nc_u32_e32 v14, 0x3f1, v30
	v_or_b32_e32 v24, 0x1000, v18
	v_mul_f64 v[22:23], v[11:12], s[2:3]
	v_lshl_or_b32 v28, v26, 12, v16
	v_lshrrev_b32_e32 v12, 16, v15
	v_med3_i32 v11, v14, 0, 13
	v_cmp_gt_i32_e32 vcc_lo, 1, v26
	v_lshrrev_b32_e32 v15, v11, v24
	v_cndmask_b32_e32 v14, v28, v6, vcc_lo
	v_and_or_b32 v6, 0x8000, v12, v8
	v_lshlrev_b32_e32 v11, v11, v15
	v_and_b32_e32 v8, 7, v14
	v_lshl_or_b32 v25, v6, 16, v5
	v_cvt_f64_f32_e32 v[5:6], v3
	v_add_nc_u32_e32 v3, 0xfffffc10, v30
	v_cmp_ne_u32_e64 s0, v11, v24
	v_cmp_lt_i32_e32 vcc_lo, 5, v8
	global_store_dword v[20:21], v25, off
	v_and_or_b32 v12, 0x1ff, v23, v22
	v_cndmask_b32_e64 v11, 0, 1, s0
	v_cmp_eq_u32_e64 s0, 3, v8
	v_lshrrev_b32_e32 v8, 2, v14
	v_lshl_or_b32 v14, v3, 12, v18
	v_bfe_u32 v24, v23, 20, 11
	v_or_b32_e32 v11, v15, v11
	s_or_b32 vcc_lo, s0, vcc_lo
	v_lshrrev_b32_e32 v15, 8, v23
	v_add_co_ci_u32_e32 v8, vcc_lo, 0, v8, vcc_lo
	v_cmp_gt_i32_e32 vcc_lo, 1, v3
	v_sub_nc_u32_e32 v29, 0x3f1, v24
	v_add_nc_u32_e32 v24, 0xfffffc10, v24
	v_cndmask_b32_e32 v22, v14, v11, vcc_lo
	v_cmp_ne_u32_e32 vcc_lo, 0, v12
	ds_read2_b32 v[11:12], v149 offset0:152 offset1:233
	v_and_b32_e32 v27, 7, v22
	v_cndmask_b32_e64 v14, 0, 1, vcc_lo
	v_cmp_ne_u32_e32 vcc_lo, 0, v16
	v_lshrrev_b32_e32 v22, 2, v22
	v_cmp_eq_u32_e64 s0, 3, v27
	v_and_or_b32 v28, 0xffe, v15, v14
	v_cndmask_b32_e64 v16, 0, 1, vcc_lo
	v_cmp_gt_i32_e32 vcc_lo, 31, v26
	v_mul_f64 v[14:15], v[5:6], s[2:3]
	v_lshl_or_b32 v6, v16, 9, 0x7c00
	v_cndmask_b32_e32 v5, 0x7c00, v8, vcc_lo
	v_cmp_lt_i32_e32 vcc_lo, 5, v27
	v_or_b32_e32 v8, 0x1000, v28
	v_med3_i32 v16, v29, 0, 13
	s_waitcnt lgkmcnt(0)
	v_lshrrev_b32_e32 v27, 16, v11
	v_cndmask_b32_e64 v26, v5, v6, s1
	s_or_b32 vcc_lo, s0, vcc_lo
	v_add_co_u32 v20, s1, v20, s5
	v_add_co_ci_u32_e32 v5, vcc_lo, 0, v22, vcc_lo
	v_lshrrev_b32_e32 v29, v16, v8
	v_cmp_ne_u32_e32 vcc_lo, 0, v18
	v_mul_f16_sdwa v6, v138, v27 dst_sel:DWORD dst_unused:UNUSED_PAD src0_sel:WORD_1 src1_sel:DWORD
	v_and_or_b32 v26, 0x8000, v17, v26
	v_add_co_ci_u32_e64 v21, s1, s4, v21, s1
	v_lshlrev_b32_e32 v16, v16, v29
	v_cndmask_b32_e64 v18, 0, 1, vcc_lo
	v_cmp_gt_i32_e32 vcc_lo, 31, v3
	v_fmac_f16_e32 v6, v138, v11
	v_and_or_b32 v14, 0x1ff, v15, v14
	v_bfe_u32 v30, v15, 20, 11
	v_lshl_or_b32 v18, v18, 9, 0x7c00
	v_cndmask_b32_e32 v22, 0x7c00, v5, vcc_lo
	v_cmp_ne_u32_e32 vcc_lo, v16, v8
	v_cvt_f32_f16_e32 v5, v6
	v_lshrrev_b32_e32 v16, 8, v15
	v_mul_f16_sdwa v11, v138, v11 dst_sel:DWORD dst_unused:UNUSED_PAD src0_sel:WORD_1 src1_sel:DWORD
	v_and_b32_e32 v26, 0xffff, v26
	v_cndmask_b32_e64 v8, 0, 1, vcc_lo
	v_cmp_ne_u32_e32 vcc_lo, 0, v14
	v_cvt_f64_f32_e32 v[5:6], v5
	v_fma_f16 v11, v138, v27, -v11
	v_or_b32_e32 v8, v29, v8
	v_cndmask_b32_e64 v14, 0, 1, vcc_lo
	v_cmp_eq_u32_e32 vcc_lo, 0x40f, v3
	v_lshl_or_b32 v29, v24, 12, v28
	v_cvt_f32_f16_e32 v11, v11
	v_and_or_b32 v14, 0xffe, v16, v14
	v_cndmask_b32_e32 v3, v22, v18, vcc_lo
	v_cmp_gt_i32_e32 vcc_lo, 1, v24
	v_sub_nc_u32_e32 v16, 0x3f1, v30
	v_or_b32_e32 v22, 0x1000, v14
	v_and_or_b32 v3, 0x8000, v31, v3
	v_cndmask_b32_e32 v8, v29, v8, vcc_lo
	v_med3_i32 v29, v16, 0, 13
	v_lshl_or_b32 v3, v3, 16, v26
	v_and_b32_e32 v18, 7, v8
	v_lshrrev_b32_e32 v25, v29, v22
	v_mul_f64 v[16:17], v[5:6], s[2:3]
	v_lshrrev_b32_e32 v5, 2, v8
	global_store_dword v[20:21], v3, off
	v_cmp_lt_i32_e32 vcc_lo, 5, v18
	v_cmp_eq_u32_e64 s0, 3, v18
	v_lshlrev_b32_e32 v6, v29, v25
	v_cvt_f64_f32_e32 v[18:19], v11
	v_add_nc_u32_e32 v11, 0xfffffc10, v30
	s_or_b32 vcc_lo, s0, vcc_lo
	v_add_co_ci_u32_e32 v8, vcc_lo, 0, v5, vcc_lo
	v_cmp_ne_u32_e32 vcc_lo, v6, v22
	v_lshl_or_b32 v27, v11, 12, v14
	v_cndmask_b32_e64 v5, 0, 1, vcc_lo
	v_cmp_ne_u32_e32 vcc_lo, 0, v28
	v_and_or_b32 v16, 0x1ff, v17, v16
	v_or_b32_e32 v25, v25, v5
	v_cndmask_b32_e64 v22, 0, 1, vcc_lo
	v_cmp_gt_i32_e32 vcc_lo, 31, v24
	ds_read2_b32 v[5:6], v147 offset0:58 offset1:139
	v_lshrrev_b32_e32 v26, 8, v17
	v_mul_f64 v[18:19], v[18:19], s[2:3]
	v_lshl_or_b32 v22, v22, 9, 0x7c00
	v_cndmask_b32_e32 v8, 0x7c00, v8, vcc_lo
	v_cmp_gt_i32_e32 vcc_lo, 1, v11
	v_cndmask_b32_e32 v25, v27, v25, vcc_lo
	v_cmp_ne_u32_e32 vcc_lo, 0, v16
	v_bfe_u32 v27, v17, 20, 11
	v_cndmask_b32_e64 v16, 0, 1, vcc_lo
	v_cmp_eq_u32_e32 vcc_lo, 0x40f, v24
	v_lshrrev_b32_e32 v24, 16, v23
	v_sub_nc_u32_e32 v23, 0x3f1, v27
	v_add_nc_u32_e32 v27, 0xfffffc10, v27
	v_and_or_b32 v16, 0xffe, v26, v16
	v_cndmask_b32_e32 v8, v8, v22, vcc_lo
	v_and_b32_e32 v22, 7, v25
	s_waitcnt lgkmcnt(0)
	v_lshrrev_b32_e32 v26, 16, v6
	v_lshrrev_b32_e32 v25, 2, v25
	v_or_b32_e32 v28, 0x1000, v16
	v_and_or_b32 v18, 0x1ff, v19, v18
	v_cmp_lt_i32_e32 vcc_lo, 5, v22
	v_cmp_eq_u32_e64 s0, 3, v22
	v_med3_i32 v22, v23, 0, 13
	v_mul_f16_sdwa v23, v136, v26 dst_sel:DWORD dst_unused:UNUSED_PAD src0_sel:WORD_1 src1_sel:DWORD
	v_lshrrev_b32_e32 v31, 8, v19
	v_bfe_u32 v32, v19, 20, 11
	s_or_b32 vcc_lo, s0, vcc_lo
	v_lshrrev_b32_e32 v29, v22, v28
	v_add_co_ci_u32_e32 v25, vcc_lo, 0, v25, vcc_lo
	v_cmp_ne_u32_e32 vcc_lo, 0, v14
	v_fmac_f16_e32 v23, v136, v6
	v_lshlrev_b32_e32 v30, v22, v29
	v_mul_f16_sdwa v6, v136, v6 dst_sel:DWORD dst_unused:UNUSED_PAD src0_sel:WORD_1 src1_sel:DWORD
	v_and_or_b32 v8, 0x8000, v24, v8
	v_cndmask_b32_e64 v14, 0, 1, vcc_lo
	v_cmp_ne_u32_e32 vcc_lo, 0, v18
	v_cvt_f32_f16_e32 v22, v23
	v_fma_f16 v6, v136, v26, -v6
	v_lshl_or_b32 v14, v14, 9, 0x7c00
	v_cndmask_b32_e64 v18, 0, 1, vcc_lo
	v_cmp_ne_u32_e32 vcc_lo, v30, v28
	v_cvt_f64_f32_e32 v[22:23], v22
	v_sub_nc_u32_e32 v30, 0x3f1, v32
	v_cvt_f32_f16_e32 v6, v6
	v_and_or_b32 v18, 0xffe, v31, v18
	v_cndmask_b32_e64 v28, 0, 1, vcc_lo
	v_cmp_gt_i32_e32 vcc_lo, 31, v11
	v_med3_i32 v30, v30, 0, 13
	v_or_b32_e32 v31, 0x1000, v18
	v_or_b32_e32 v28, v29, v28
	v_cndmask_b32_e32 v25, 0x7c00, v25, vcc_lo
	v_lshl_or_b32 v29, v27, 12, v16
	v_cmp_gt_i32_e32 vcc_lo, 1, v27
	v_cndmask_b32_e32 v28, v29, v28, vcc_lo
	v_cmp_eq_u32_e32 vcc_lo, 0x40f, v11
	v_lshrrev_b32_e32 v29, v30, v31
	v_and_b32_e32 v26, 7, v28
	v_cndmask_b32_e32 v11, v25, v14, vcc_lo
	v_lshrrev_b32_e32 v25, 16, v15
	v_mul_f64 v[14:15], v[22:23], s[2:3]
	v_cvt_f64_f32_e32 v[22:23], v6
	v_cmp_lt_i32_e32 vcc_lo, 5, v26
	v_cmp_eq_u32_e64 s0, 3, v26
	v_and_b32_e32 v6, 0xffff, v8
	v_lshrrev_b32_e32 v8, 2, v28
	v_lshlrev_b32_e32 v24, v30, v29
	v_and_or_b32 v11, 0x8000, v25, v11
	s_or_b32 vcc_lo, s0, vcc_lo
	v_add_nc_u32_e32 v25, 0xfffffc10, v32
	v_add_co_ci_u32_e32 v8, vcc_lo, 0, v8, vcc_lo
	v_cmp_ne_u32_e64 s1, v24, v31
	v_cmp_ne_u32_e32 vcc_lo, 0, v16
	v_lshl_or_b32 v6, v11, 16, v6
	v_lshrrev_b32_e32 v28, 16, v13
	v_cndmask_b32_e64 v24, 0, 1, s1
	v_cndmask_b32_e64 v3, 0, 1, vcc_lo
	v_cmp_gt_i32_e32 vcc_lo, 31, v27
	v_or_b32_e32 v16, v29, v24
	v_lshl_or_b32 v24, v25, 12, v18
	v_cndmask_b32_e32 v8, 0x7c00, v8, vcc_lo
	v_cmp_gt_i32_e32 vcc_lo, 1, v25
	v_mul_f64 v[22:23], v[22:23], s[2:3]
	v_and_or_b32 v14, 0x1ff, v15, v14
	v_lshl_or_b32 v3, v3, 9, 0x7c00
	v_lshrrev_b32_e32 v26, 8, v15
	v_cndmask_b32_e32 v11, v24, v16, vcc_lo
	v_cmp_eq_u32_e32 vcc_lo, 0x40f, v27
	v_bfe_u32 v27, v15, 20, 11
	v_lshrrev_b32_e32 v15, 16, v15
	v_and_b32_e32 v24, 7, v11
	v_cndmask_b32_e32 v3, v8, v3, vcc_lo
	v_cmp_ne_u32_e32 vcc_lo, 0, v14
	v_lshrrev_b32_e32 v8, 16, v17
	v_lshrrev_b32_e32 v11, 2, v11
	v_cmp_eq_u32_e64 s0, 3, v24
	v_cndmask_b32_e64 v14, 0, 1, vcc_lo
	v_add_co_u32 v16, vcc_lo, v20, s5
	v_add_co_ci_u32_e32 v17, vcc_lo, s4, v21, vcc_lo
	v_cmp_lt_i32_e32 vcc_lo, 5, v24
	v_and_or_b32 v26, 0xffe, v26, v14
	v_sub_nc_u32_e32 v14, 0x3f1, v27
	v_and_or_b32 v22, 0x1ff, v23, v22
	v_mul_f16_sdwa v20, v135, v28 dst_sel:DWORD dst_unused:UNUSED_PAD src0_sel:WORD_1 src1_sel:DWORD
	s_or_b32 vcc_lo, s0, vcc_lo
	v_or_b32_e32 v24, 0x1000, v26
	v_add_co_ci_u32_e32 v11, vcc_lo, 0, v11, vcc_lo
	v_med3_i32 v14, v14, 0, 13
	v_cmp_ne_u32_e32 vcc_lo, 0, v18
	v_fmac_f16_e32 v20, v135, v13
	v_lshrrev_b32_e32 v30, 8, v23
	v_bfe_u32 v31, v23, 20, 11
	v_lshrrev_b32_e32 v29, v14, v24
	v_cndmask_b32_e64 v18, 0, 1, vcc_lo
	v_cmp_ne_u32_e32 vcc_lo, 0, v22
	v_cvt_f32_f16_e32 v20, v20
	v_mul_f16_sdwa v13, v135, v13 dst_sel:DWORD dst_unused:UNUSED_PAD src0_sel:WORD_1 src1_sel:DWORD
	v_lshlrev_b32_e32 v14, v14, v29
	v_lshl_or_b32 v18, v18, 9, 0x7c00
	v_cndmask_b32_e64 v22, 0, 1, vcc_lo
	v_cmp_gt_i32_e32 vcc_lo, 31, v25
	v_cvt_f64_f32_e32 v[20:21], v20
	v_fma_f16 v13, v135, v28, -v13
	v_and_or_b32 v3, 0x8000, v8, v3
	v_and_or_b32 v22, 0xffe, v30, v22
	v_cndmask_b32_e32 v11, 0x7c00, v11, vcc_lo
	v_cmp_ne_u32_e32 vcc_lo, v14, v24
	v_sub_nc_u32_e32 v30, 0x3f1, v31
	v_add_nc_u32_e32 v24, 0xfffffc10, v27
	v_or_b32_e32 v27, 0x1000, v22
	v_cvt_f32_f16_e32 v13, v13
	v_cndmask_b32_e64 v14, 0, 1, vcc_lo
	v_med3_i32 v30, v30, 0, 13
	v_cmp_gt_i32_e32 vcc_lo, 1, v24
	v_and_b32_e32 v3, 0xffff, v3
	v_or_b32_e32 v14, v29, v14
	v_lshl_or_b32 v29, v24, 12, v26
	v_lshrrev_b32_e32 v32, v30, v27
	v_cndmask_b32_e32 v28, v29, v14, vcc_lo
	v_cmp_eq_u32_e32 vcc_lo, 0x40f, v25
	v_mul_f64 v[20:21], v[20:21], s[2:3]
	v_cvt_f64_f32_e32 v[13:14], v13
	v_and_b32_e32 v8, 7, v28
	v_cndmask_b32_e32 v11, v11, v18, vcc_lo
	v_lshrrev_b32_e32 v18, 16, v19
	v_lshlrev_b32_e32 v19, v30, v32
	v_cmp_lt_i32_e32 vcc_lo, 5, v8
	v_and_or_b32 v11, 0x8000, v18, v11
	v_cmp_ne_u32_e64 s0, v19, v27
	v_add_nc_u32_e32 v27, 0xfffffc10, v31
	v_lshl_or_b32 v3, v11, 16, v3
	v_cndmask_b32_e64 v18, 0, 1, s0
	v_cmp_eq_u32_e64 s0, 3, v8
	v_lshrrev_b32_e32 v8, 2, v28
	v_or_b32_e32 v11, v32, v18
	s_or_b32 vcc_lo, s0, vcc_lo
	v_lshl_or_b32 v18, v27, 12, v22
	v_add_co_ci_u32_e32 v8, vcc_lo, 0, v8, vcc_lo
	v_cmp_ne_u32_e32 vcc_lo, 0, v26
	v_and_or_b32 v20, 0x1ff, v21, v20
	v_lshrrev_b32_e32 v28, 8, v21
	v_bfe_u32 v29, v21, 20, 11
	v_cndmask_b32_e64 v25, 0, 1, vcc_lo
	v_cmp_gt_i32_e32 vcc_lo, 1, v27
	v_lshl_or_b32 v25, v25, 9, 0x7c00
	v_cndmask_b32_e32 v11, v18, v11, vcc_lo
	v_cmp_gt_i32_e32 vcc_lo, 31, v24
	v_mul_f64 v[18:19], v[13:14], s[2:3]
	ds_read2_b32 v[13:14], v143 offset0:68 offset1:149
	v_and_b32_e32 v26, 7, v11
	v_cndmask_b32_e32 v8, 0x7c00, v8, vcc_lo
	v_cmp_ne_u32_e32 vcc_lo, 0, v20
	v_lshrrev_b32_e32 v11, 2, v11
	v_cmp_eq_u32_e64 s0, 3, v26
	v_cndmask_b32_e64 v20, 0, 1, vcc_lo
	v_cmp_eq_u32_e32 vcc_lo, 0x40f, v24
	v_sub_nc_u32_e32 v24, 0x3f1, v29
	v_add_nc_u32_e32 v29, 0xfffffc10, v29
	v_and_or_b32 v20, 0xffe, v28, v20
	v_cndmask_b32_e32 v8, v8, v25, vcc_lo
	v_cmp_lt_i32_e32 vcc_lo, 5, v26
	v_med3_i32 v24, v24, 0, 13
	v_lshl_or_b32 v33, v29, 12, v20
	s_waitcnt lgkmcnt(0)
	v_lshrrev_b32_e32 v26, 16, v13
	s_or_b32 vcc_lo, s0, vcc_lo
	v_and_or_b32 v8, 0x8000, v15, v8
	v_add_co_ci_u32_e32 v11, vcc_lo, 0, v11, vcc_lo
	v_cmp_ne_u32_e32 vcc_lo, 0, v22
	v_or_b32_e32 v15, 0x1000, v20
	v_and_or_b32 v18, 0x1ff, v19, v18
	v_mul_f16_sdwa v25, v133, v26 dst_sel:DWORD dst_unused:UNUSED_PAD src0_sel:WORD_1 src1_sel:DWORD
	v_lshrrev_b32_e32 v30, 8, v19
	v_cndmask_b32_e64 v22, 0, 1, vcc_lo
	v_cmp_gt_i32_e32 vcc_lo, 31, v27
	v_lshrrev_b32_e32 v28, v24, v15
	v_fmac_f16_e32 v25, v133, v13
	v_bfe_u32 v31, v19, 20, 11
	v_lshl_or_b32 v22, v22, 9, 0x7c00
	v_cndmask_b32_e32 v11, 0x7c00, v11, vcc_lo
	v_cmp_ne_u32_e32 vcc_lo, 0, v18
	v_lshlrev_b32_e32 v24, v24, v28
	v_cvt_f32_f16_e32 v25, v25
	v_mul_f16_sdwa v13, v133, v13 dst_sel:DWORD dst_unused:UNUSED_PAD src0_sel:WORD_1 src1_sel:DWORD
	v_and_b32_e32 v8, 0xffff, v8
	v_cndmask_b32_e64 v18, 0, 1, vcc_lo
	v_cmp_ne_u32_e32 vcc_lo, v24, v15
	v_cvt_f64_f32_e32 v[24:25], v25
	v_lshrrev_b32_e32 v19, 16, v19
	v_and_or_b32 v30, 0xffe, v30, v18
	v_sub_nc_u32_e32 v18, 0x3f1, v31
	v_cndmask_b32_e64 v15, 0, 1, vcc_lo
	v_cmp_eq_u32_e32 vcc_lo, 0x40f, v27
	v_lshrrev_b32_e32 v27, 16, v23
	v_or_b32_e32 v32, 0x1000, v30
	v_med3_i32 v18, v18, 0, 13
	v_or_b32_e32 v15, v28, v15
	v_cndmask_b32_e32 v11, v11, v22, vcc_lo
	v_add_co_u32 v22, vcc_lo, v16, s5
	v_add_co_ci_u32_e32 v23, vcc_lo, s4, v17, vcc_lo
	v_lshrrev_b32_e32 v28, v18, v32
	v_cmp_gt_i32_e32 vcc_lo, 1, v29
	v_and_or_b32 v11, 0x8000, v27, v11
	global_store_dword v[16:17], v6, off
	global_store_dword v[22:23], v3, off
	v_fma_f16 v6, v133, v26, -v13
	v_lshlrev_b32_e32 v18, v18, v28
	v_cndmask_b32_e32 v27, v33, v15, vcc_lo
	v_mul_f64 v[15:16], v[24:25], s[2:3]
	v_add_nc_u32_e32 v24, 0xfffffc10, v31
	v_cvt_f32_f16_e32 v6, v6
	v_cmp_ne_u32_e32 vcc_lo, v18, v32
	v_and_b32_e32 v3, 7, v27
	v_lshrrev_b32_e32 v26, 16, v10
	v_cmp_gt_i32_e64 s1, 1, v24
	v_cvt_f64_f32_e32 v[17:18], v6
	v_cndmask_b32_e64 v13, 0, 1, vcc_lo
	v_cmp_lt_i32_e32 vcc_lo, 5, v3
	v_cmp_eq_u32_e64 s0, 3, v3
	v_lshl_or_b32 v6, v11, 16, v8
	v_lshrrev_b32_e32 v8, 2, v27
	v_or_b32_e32 v3, v28, v13
	v_lshl_or_b32 v13, v24, 12, v30
	s_or_b32 vcc_lo, s0, vcc_lo
	v_add_co_ci_u32_e32 v8, vcc_lo, 0, v8, vcc_lo
	v_cmp_ne_u32_e32 vcc_lo, 0, v20
	v_cndmask_b32_e64 v3, v13, v3, s1
	v_mul_f16_sdwa v20, v132, v26 dst_sel:DWORD dst_unused:UNUSED_PAD src0_sel:WORD_1 src1_sel:DWORD
	v_and_or_b32 v15, 0x1ff, v16, v15
	v_bfe_u32 v25, v16, 20, 11
	v_cndmask_b32_e64 v11, 0, 1, vcc_lo
	v_add_co_u32 v22, vcc_lo, v22, s5
	v_add_co_ci_u32_e32 v23, vcc_lo, s4, v23, vcc_lo
	v_and_b32_e32 v13, 7, v3
	v_cmp_gt_i32_e32 vcc_lo, 31, v29
	v_mul_f64 v[17:18], v[17:18], s[2:3]
	v_lshrrev_b32_e32 v3, 2, v3
	v_cmp_ne_u32_e64 s1, 0, v15
	v_cmp_eq_u32_e64 s0, 3, v13
	v_cndmask_b32_e32 v8, 0x7c00, v8, vcc_lo
	v_cmp_lt_i32_e32 vcc_lo, 5, v13
	v_lshrrev_b32_e32 v15, 8, v16
	v_cndmask_b32_e64 v13, 0, 1, s1
	v_lshl_or_b32 v11, v11, 9, 0x7c00
	v_fmac_f16_e32 v20, v132, v10
	s_or_b32 vcc_lo, s0, vcc_lo
	global_store_dword v[22:23], v6, off
	v_add_co_ci_u32_e32 v3, vcc_lo, 0, v3, vcc_lo
	v_cmp_ne_u32_e32 vcc_lo, 0, v30
	v_and_or_b32 v13, 0xffe, v15, v13
	v_sub_nc_u32_e32 v15, 0x3f1, v25
	v_cvt_f32_f16_e32 v20, v20
	v_add_nc_u32_e32 v25, 0xfffffc10, v25
	v_cndmask_b32_e64 v27, 0, 1, vcc_lo
	v_cmp_eq_u32_e32 vcc_lo, 0x40f, v29
	v_or_b32_e32 v28, 0x1000, v13
	v_med3_i32 v15, v15, 0, 13
	v_and_or_b32 v17, 0x1ff, v18, v17
	v_lshl_or_b32 v27, v27, 9, 0x7c00
	v_cndmask_b32_e32 v8, v8, v11, vcc_lo
	v_cmp_gt_i32_e32 vcc_lo, 31, v24
	v_lshrrev_b32_e32 v11, v15, v28
	v_lshrrev_b32_e32 v29, 16, v21
	v_cvt_f64_f32_e32 v[20:21], v20
	v_bfe_u32 v6, v18, 20, 11
	v_cndmask_b32_e32 v3, 0x7c00, v3, vcc_lo
	v_cmp_eq_u32_e32 vcc_lo, 0x40f, v24
	v_lshlrev_b32_e32 v15, v15, v11
	v_lshrrev_b32_e32 v24, 8, v18
	v_and_or_b32 v8, 0x8000, v29, v8
	v_mul_f16_sdwa v10, v132, v10 dst_sel:DWORD dst_unused:UNUSED_PAD src0_sel:WORD_1 src1_sel:DWORD
	v_cndmask_b32_e32 v3, v3, v27, vcc_lo
	v_cmp_ne_u32_e32 vcc_lo, 0, v17
	s_mul_i32 s0, s9, 0xffffdf18
	v_and_b32_e32 v8, 0xffff, v8
	v_fma_f16 v10, v132, v26, -v10
	v_and_or_b32 v3, 0x8000, v19, v3
	v_cndmask_b32_e64 v17, 0, 1, vcc_lo
	v_cmp_ne_u32_e32 vcc_lo, v15, v28
	s_sub_i32 s6, s0, s8
	v_lshrrev_b32_e32 v18, 16, v18
	v_lshl_or_b32 v3, v3, 16, v8
	v_and_or_b32 v17, 0xffe, v24, v17
	v_cndmask_b32_e64 v15, 0, 1, vcc_lo
	v_sub_nc_u32_e32 v24, 0x3f1, v6
	v_cmp_gt_i32_e32 vcc_lo, 1, v25
	v_mul_f64 v[19:20], v[20:21], s[2:3]
	v_or_b32_e32 v27, 0x1000, v17
	v_or_b32_e32 v11, v11, v15
	v_lshl_or_b32 v15, v25, 12, v13
	v_med3_i32 v24, v24, 0, 13
	v_cvt_f32_f16_e32 v8, v10
	v_mad_u64_u32 v[21:22], null, 0xffffdf18, s8, v[22:23]
	v_cndmask_b32_e32 v15, v15, v11, vcc_lo
	v_lshrrev_b32_e32 v26, v24, v27
	ds_read2_b32 v[10:11], v140 offset0:42 offset1:123
	v_add_nc_u32_e32 v6, 0xfffffc10, v6
	v_and_b32_e32 v28, 7, v15
	v_lshlrev_b32_e32 v29, v24, v26
	v_cvt_f64_f32_e32 v[23:24], v8
	v_lshrrev_b32_e32 v8, 2, v15
	v_add_nc_u32_e32 v22, s6, v22
	v_cmp_lt_i32_e32 vcc_lo, 5, v28
	v_cmp_eq_u32_e64 s0, 3, v28
	v_cmp_ne_u32_e64 s1, v29, v27
	v_and_or_b32 v19, 0x1ff, v20, v19
	v_bfe_u32 v28, v20, 20, 11
	s_or_b32 vcc_lo, s0, vcc_lo
	v_cndmask_b32_e64 v15, 0, 1, s1
	v_add_co_ci_u32_e32 v8, vcc_lo, 0, v8, vcc_lo
	v_cmp_ne_u32_e32 vcc_lo, 0, v13
	v_cmp_eq_u32_e64 s1, 0x40f, v25
	v_or_b32_e32 v15, v26, v15
	v_lshl_or_b32 v26, v6, 12, v17
	s_waitcnt lgkmcnt(0)
	v_lshrrev_b32_e32 v27, 16, v10
	v_cndmask_b32_e64 v13, 0, 1, vcc_lo
	v_cmp_gt_i32_e32 vcc_lo, 1, v6
	global_store_dword v[21:22], v3, off
	v_mul_f64 v[23:24], v[23:24], s[2:3]
	v_lshl_or_b32 v13, v13, 9, 0x7c00
	v_cndmask_b32_e32 v15, v26, v15, vcc_lo
	v_cmp_ne_u32_e32 vcc_lo, 0, v19
	v_lshrrev_b32_e32 v26, 8, v20
	v_mul_f16_sdwa v29, v130, v27 dst_sel:DWORD dst_unused:UNUSED_PAD src0_sel:WORD_1 src1_sel:DWORD
	v_and_b32_e32 v30, 7, v15
	v_cndmask_b32_e64 v19, 0, 1, vcc_lo
	v_cmp_gt_i32_e32 vcc_lo, 31, v25
	v_fmac_f16_e32 v29, v130, v10
	v_mul_f16_sdwa v10, v130, v10 dst_sel:DWORD dst_unused:UNUSED_PAD src0_sel:WORD_1 src1_sel:DWORD
	v_cmp_eq_u32_e64 s0, 3, v30
	v_and_or_b32 v19, 0xffe, v26, v19
	v_cndmask_b32_e32 v8, 0x7c00, v8, vcc_lo
	v_cmp_lt_i32_e32 vcc_lo, 5, v30
	v_sub_nc_u32_e32 v26, 0x3f1, v28
	v_lshrrev_b32_e32 v30, 16, v16
	v_or_b32_e32 v31, 0x1000, v19
	v_cndmask_b32_e64 v8, v8, v13, s1
	v_lshrrev_b32_e32 v13, 2, v15
	s_or_b32 vcc_lo, s0, vcc_lo
	v_med3_i32 v32, v26, 0, 13
	v_cvt_f32_f16_e32 v26, v29
	v_and_or_b32 v23, 0x1ff, v24, v23
	v_add_co_ci_u32_e32 v13, vcc_lo, 0, v13, vcc_lo
	v_cmp_ne_u32_e32 vcc_lo, 0, v17
	v_lshrrev_b32_e32 v15, v32, v31
	v_cvt_f64_f32_e32 v[25:26], v26
	v_add_nc_u32_e32 v28, 0xfffffc10, v28
	v_fma_f16 v10, v130, v27, -v10
	v_cndmask_b32_e64 v17, 0, 1, vcc_lo
	v_cmp_gt_i32_e32 vcc_lo, 31, v6
	v_lshlrev_b32_e32 v29, v32, v15
	v_bfe_u32 v32, v24, 20, 11
	v_and_or_b32 v8, 0x8000, v30, v8
	v_lshl_or_b32 v16, v17, 9, 0x7c00
	v_cndmask_b32_e32 v13, 0x7c00, v13, vcc_lo
	v_cmp_ne_u32_e32 vcc_lo, 0, v23
	v_lshrrev_b32_e32 v23, 8, v24
	v_cvt_f32_f16_e32 v10, v10
	v_and_b32_e32 v8, 0xffff, v8
	v_cndmask_b32_e64 v17, 0, 1, vcc_lo
	v_cmp_ne_u32_e32 vcc_lo, v29, v31
	v_and_or_b32 v23, 0xffe, v23, v17
	v_cndmask_b32_e64 v29, 0, 1, vcc_lo
	v_cmp_eq_u32_e32 vcc_lo, 0x40f, v6
	v_or_b32_e32 v17, v15, v29
	v_cndmask_b32_e32 v6, v13, v16, vcc_lo
	v_sub_nc_u32_e32 v13, 0x3f1, v32
	v_mul_f64 v[15:16], v[25:26], s[2:3]
	v_or_b32_e32 v25, 0x1000, v23
	v_lshl_or_b32 v29, v28, 12, v19
	v_cmp_gt_i32_e32 vcc_lo, 1, v28
	v_med3_i32 v13, v13, 0, 13
	v_and_or_b32 v6, 0x8000, v18, v6
	v_cndmask_b32_e32 v26, v29, v17, vcc_lo
	v_lshrrev_b32_e32 v27, v13, v25
	v_cvt_f64_f32_e32 v[17:18], v10
	v_lshl_or_b32 v3, v6, 16, v8
	v_add_nc_u32_e32 v8, 0xfffffc10, v32
	v_and_b32_e32 v29, 7, v26
	v_lshlrev_b32_e32 v13, v13, v27
	v_cmp_lt_i32_e32 vcc_lo, 5, v29
	v_cmp_ne_u32_e64 s0, v13, v25
	v_lshrrev_b32_e32 v13, 2, v26
	v_and_or_b32 v10, 0x1ff, v16, v15
	v_lshl_or_b32 v15, v8, 12, v23
	v_cndmask_b32_e64 v6, 0, 1, s0
	v_cmp_eq_u32_e64 s0, 3, v29
	v_lshrrev_b32_e32 v25, 8, v16
	v_cmp_ne_u32_e64 s1, 0, v10
	v_bfe_u32 v26, v16, 20, 11
	v_or_b32_e32 v6, v27, v6
	s_or_b32 vcc_lo, s0, vcc_lo
	v_lshrrev_b32_e32 v16, 16, v16
	v_add_co_ci_u32_e32 v13, vcc_lo, 0, v13, vcc_lo
	v_cmp_gt_i32_e32 vcc_lo, 1, v8
	v_cndmask_b32_e64 v10, 0, 1, s1
	v_mul_f64 v[17:18], v[17:18], s[2:3]
	v_cmp_eq_u32_e64 s1, 0x40f, v28
	v_cndmask_b32_e32 v6, v15, v6, vcc_lo
	v_cmp_ne_u32_e32 vcc_lo, 0, v19
	v_and_or_b32 v10, 0xffe, v25, v10
	v_sub_nc_u32_e32 v15, 0x3f1, v26
	v_add_nc_u32_e32 v26, 0xfffffc10, v26
	v_and_b32_e32 v25, 7, v6
	v_cndmask_b32_e64 v19, 0, 1, vcc_lo
	v_cmp_gt_i32_e32 vcc_lo, 31, v28
	v_lshrrev_b32_e32 v6, 2, v6
	v_or_b32_e32 v27, 0x1000, v10
	v_cmp_eq_u32_e64 s0, 3, v25
	v_med3_i32 v15, v15, 0, 13
	v_cndmask_b32_e32 v13, 0x7c00, v13, vcc_lo
	v_cmp_lt_i32_e32 vcc_lo, 5, v25
	v_lshl_or_b32 v19, v19, 9, 0x7c00
	v_lshrrev_b32_e32 v25, 16, v7
	v_lshrrev_b32_e32 v29, v15, v27
	;; [unrolled: 1-line block ×3, first 2 shown]
	s_or_b32 vcc_lo, s0, vcc_lo
	v_cndmask_b32_e64 v13, v13, v19, s1
	v_add_co_ci_u32_e32 v6, vcc_lo, 0, v6, vcc_lo
	v_cmp_ne_u32_e32 vcc_lo, 0, v23
	v_mul_f16_sdwa v19, v129, v25 dst_sel:DWORD dst_unused:UNUSED_PAD src0_sel:WORD_1 src1_sel:DWORD
	v_lshlrev_b32_e32 v15, v15, v29
	v_and_or_b32 v17, 0x1ff, v18, v17
	v_bfe_u32 v30, v18, 20, 11
	v_cndmask_b32_e64 v23, 0, 1, vcc_lo
	v_cmp_gt_i32_e32 vcc_lo, 31, v8
	v_fmac_f16_e32 v19, v129, v7
	v_mul_f16_sdwa v7, v129, v7 dst_sel:DWORD dst_unused:UNUSED_PAD src0_sel:WORD_1 src1_sel:DWORD
	v_and_or_b32 v13, 0x8000, v28, v13
	v_lshl_or_b32 v23, v23, 9, 0x7c00
	v_cndmask_b32_e32 v6, 0x7c00, v6, vcc_lo
	v_cmp_ne_u32_e32 vcc_lo, v15, v27
	v_cvt_f32_f16_e32 v19, v19
	v_lshrrev_b32_e32 v27, 8, v18
	v_fma_f16 v7, v129, v25, -v7
	v_add_nc_u32_e32 v25, 0xfffffc10, v30
	v_cndmask_b32_e64 v15, 0, 1, vcc_lo
	v_cmp_ne_u32_e32 vcc_lo, 0, v17
	v_cvt_f64_f32_e32 v[19:20], v19
	v_cvt_f32_f16_e32 v7, v7
	v_and_b32_e32 v13, 0xffff, v13
	v_or_b32_e32 v15, v29, v15
	v_cndmask_b32_e64 v17, 0, 1, vcc_lo
	v_lshl_or_b32 v29, v26, 12, v10
	v_cmp_gt_i32_e32 vcc_lo, 1, v26
	v_and_or_b32 v17, 0xffe, v27, v17
	v_sub_nc_u32_e32 v27, 0x3f1, v30
	v_cndmask_b32_e32 v15, v29, v15, vcc_lo
	v_cmp_eq_u32_e32 vcc_lo, 0x40f, v8
	v_lshrrev_b32_e32 v8, 16, v24
	v_or_b32_e32 v29, 0x1000, v17
	v_med3_i32 v27, v27, 0, 13
	v_and_b32_e32 v31, 7, v15
	v_cndmask_b32_e32 v6, v6, v23, vcc_lo
	v_add_co_u32 v21, vcc_lo, v21, s5
	v_lshrrev_b32_e32 v32, v27, v29
	v_add_co_ci_u32_e32 v22, vcc_lo, s4, v22, vcc_lo
	v_cmp_lt_i32_e32 vcc_lo, 5, v31
	v_cmp_eq_u32_e64 s0, 3, v31
	v_mul_f64 v[19:20], v[19:20], s[2:3]
	v_cvt_f64_f32_e32 v[23:24], v7
	v_lshrrev_b32_e32 v7, 2, v15
	v_and_or_b32 v6, 0x8000, v8, v6
	v_lshlrev_b32_e32 v8, v27, v32
	s_or_b32 vcc_lo, s0, vcc_lo
	v_lshl_or_b32 v28, v25, 12, v17
	v_add_co_ci_u32_e32 v15, vcc_lo, 0, v7, vcc_lo
	v_cmp_ne_u32_e64 s1, v8, v29
	v_cmp_ne_u32_e32 vcc_lo, 0, v10
	v_lshl_or_b32 v6, v6, 16, v13
	global_store_dword v[21:22], v3, off
	v_cndmask_b32_e64 v8, 0, 1, s1
	v_cndmask_b32_e64 v10, 0, 1, vcc_lo
	v_cmp_gt_i32_e32 vcc_lo, 31, v26
	v_or_b32_e32 v27, v32, v8
	v_lshl_or_b32 v10, v10, 9, 0x7c00
	v_cndmask_b32_e32 v15, 0x7c00, v15, vcc_lo
	v_cmp_gt_i32_e32 vcc_lo, 1, v25
	v_and_or_b32 v13, 0x1ff, v20, v19
	v_mul_f64 v[23:24], v[23:24], s[2:3]
	ds_read2_b32 v[7:8], v137 offset0:16 offset1:97
	v_lshrrev_b32_e32 v19, 8, v20
	v_cndmask_b32_e32 v27, v28, v27, vcc_lo
	v_cmp_eq_u32_e32 vcc_lo, 0x40f, v26
	v_bfe_u32 v26, v20, 20, 11
	v_cndmask_b32_e32 v10, v15, v10, vcc_lo
	v_and_b32_e32 v15, 7, v27
	v_cmp_ne_u32_e32 vcc_lo, 0, v13
	v_and_or_b32 v10, 0x8000, v16, v10
	v_cmp_eq_u32_e64 s0, 3, v15
	v_cndmask_b32_e64 v13, 0, 1, vcc_lo
	v_cmp_lt_i32_e32 vcc_lo, 5, v15
	v_lshrrev_b32_e32 v16, 2, v27
	v_sub_nc_u32_e32 v15, 0x3f1, v26
	v_add_nc_u32_e32 v26, 0xfffffc10, v26
	v_and_or_b32 v13, 0xffe, v19, v13
	s_or_b32 vcc_lo, s0, vcc_lo
	v_and_or_b32 v23, 0x1ff, v24, v23
	v_add_co_ci_u32_e32 v16, vcc_lo, 0, v16, vcc_lo
	v_cmp_ne_u32_e32 vcc_lo, 0, v17
	v_or_b32_e32 v27, 0x1000, v13
	v_med3_i32 v15, v15, 0, 13
	s_waitcnt lgkmcnt(0)
	v_lshrrev_b32_e32 v19, 16, v7
	v_bfe_u32 v32, v24, 20, 11
	v_cndmask_b32_e64 v17, 0, 1, vcc_lo
	v_cmp_gt_i32_e32 vcc_lo, 31, v25
	v_lshrrev_b32_e32 v29, v15, v27
	v_mul_f16_sdwa v28, v128, v19 dst_sel:DWORD dst_unused:UNUSED_PAD src0_sel:WORD_1 src1_sel:DWORD
	v_and_b32_e32 v10, 0xffff, v10
	v_lshl_or_b32 v17, v17, 9, 0x7c00
	v_cndmask_b32_e32 v30, 0x7c00, v16, vcc_lo
	v_cmp_ne_u32_e32 vcc_lo, 0, v23
	v_lshlrev_b32_e32 v31, v15, v29
	v_fmac_f16_e32 v28, v128, v7
	v_mul_f16_sdwa v7, v128, v7 dst_sel:DWORD dst_unused:UNUSED_PAD src0_sel:WORD_1 src1_sel:DWORD
	v_cndmask_b32_e64 v23, 0, 1, vcc_lo
	v_cmp_eq_u32_e32 vcc_lo, 0x40f, v25
	v_cvt_f32_f16_e32 v15, v28
	v_lshrrev_b32_e32 v28, 8, v24
	v_fma_f16 v7, v128, v19, -v7
	v_cndmask_b32_e32 v25, v30, v17, vcc_lo
	v_cmp_ne_u32_e32 vcc_lo, v31, v27
	v_and_or_b32 v23, 0xffe, v28, v23
	v_sub_nc_u32_e32 v27, 0x3f1, v32
	v_cvt_f64_f32_e32 v[15:16], v15
	v_lshrrev_b32_e32 v28, 16, v18
	v_cndmask_b32_e64 v17, 0, 1, vcc_lo
	v_lshl_or_b32 v30, v26, 12, v13
	v_or_b32_e32 v31, 0x1000, v23
	v_med3_i32 v27, v27, 0, 13
	v_and_or_b32 v25, 0x8000, v28, v25
	v_or_b32_e32 v29, v29, v17
	v_add_co_u32 v17, vcc_lo, v21, s5
	v_add_co_ci_u32_e32 v18, vcc_lo, s4, v22, vcc_lo
	v_cmp_gt_i32_e32 vcc_lo, 1, v26
	v_lshl_or_b32 v25, v25, 16, v10
	global_store_dword v[17:18], v6, off
	v_cvt_f32_f16_e32 v6, v7
	v_cndmask_b32_e32 v28, v30, v29, vcc_lo
	v_lshrrev_b32_e32 v29, v27, v31
	v_lshrrev_b32_e32 v30, 16, v9
	v_cvt_f64_f32_e32 v[6:7], v6
	v_and_b32_e32 v3, 7, v28
	v_lshlrev_b32_e32 v19, v27, v29
	v_mul_f64 v[15:16], v[15:16], s[2:3]
	v_cmp_lt_i32_e32 vcc_lo, 5, v3
	v_cmp_ne_u32_e64 s0, v19, v31
	v_add_nc_u32_e32 v19, 0xfffffc10, v32
	v_cndmask_b32_e64 v10, 0, 1, s0
	v_cmp_eq_u32_e64 s0, 3, v3
	v_lshrrev_b32_e32 v3, 2, v28
	v_lshl_or_b32 v21, v19, 12, v23
	v_or_b32_e32 v10, v29, v10
	s_or_b32 vcc_lo, s0, vcc_lo
	v_add_co_ci_u32_e32 v3, vcc_lo, 0, v3, vcc_lo
	v_cmp_ne_u32_e32 vcc_lo, 0, v13
	v_and_or_b32 v15, 0x1ff, v16, v15
	v_bfe_u32 v29, v16, 20, 11
	v_cndmask_b32_e64 v13, 0, 1, vcc_lo
	v_cmp_gt_i32_e32 vcc_lo, 1, v19
	v_lshrrev_b32_e32 v28, 8, v16
	v_lshl_or_b32 v13, v13, 9, 0x7c00
	v_cndmask_b32_e32 v10, v21, v10, vcc_lo
	v_add_co_u32 v17, vcc_lo, v17, s5
	v_add_co_ci_u32_e32 v18, vcc_lo, s4, v18, vcc_lo
	v_cmp_gt_i32_e32 vcc_lo, 31, v26
	v_and_b32_e32 v27, 7, v10
	v_mul_f64 v[21:22], v[6:7], s[2:3]
	v_sub_nc_u32_e32 v6, 0x3f1, v29
	v_lshrrev_b32_e32 v10, 2, v10
	v_cndmask_b32_e32 v3, 0x7c00, v3, vcc_lo
	v_cmp_ne_u32_e32 vcc_lo, 0, v15
	v_cmp_eq_u32_e64 s0, 3, v27
	v_mul_f16_sdwa v7, v127, v30 dst_sel:DWORD dst_unused:UNUSED_PAD src0_sel:WORD_1 src1_sel:DWORD
	global_store_dword v[17:18], v25, off
	v_cndmask_b32_e64 v15, 0, 1, vcc_lo
	v_cmp_eq_u32_e32 vcc_lo, 0x40f, v26
	v_med3_i32 v26, v6, 0, 13
	v_fmac_f16_e32 v7, v127, v9
	v_cndmask_b32_e32 v3, v3, v13, vcc_lo
	v_cmp_lt_i32_e32 vcc_lo, 5, v27
	v_and_or_b32 v13, 0xffe, v28, v15
	v_cvt_f32_f16_e32 v7, v7
	v_mul_f16_sdwa v28, v127, v9 dst_sel:DWORD dst_unused:UNUSED_PAD src0_sel:WORD_1 src1_sel:DWORD
	s_or_b32 vcc_lo, s0, vcc_lo
	v_or_b32_e32 v15, 0x1000, v13
	v_add_co_ci_u32_e32 v6, vcc_lo, 0, v10, vcc_lo
	v_cmp_ne_u32_e32 vcc_lo, 0, v23
	v_lshrrev_b32_e32 v10, 16, v20
	v_lshrrev_b32_e32 v23, v26, v15
	v_and_or_b32 v21, 0x1ff, v22, v21
	v_cndmask_b32_e64 v20, 0, 1, vcc_lo
	v_cmp_gt_i32_e32 vcc_lo, 31, v19
	v_lshlrev_b32_e32 v26, v26, v23
	v_and_or_b32 v3, 0x8000, v10, v3
	v_lshl_or_b32 v20, v20, 9, 0x7c00
	v_cndmask_b32_e32 v27, 0x7c00, v6, vcc_lo
	v_cmp_eq_u32_e32 vcc_lo, 0x40f, v19
	v_cvt_f64_f32_e32 v[6:7], v7
	v_and_b32_e32 v3, 0xffff, v3
	v_cndmask_b32_e32 v19, v27, v20, vcc_lo
	v_cmp_ne_u32_e32 vcc_lo, 0, v21
	v_lshrrev_b32_e32 v20, 8, v22
	v_bfe_u32 v21, v22, 20, 11
	v_lshrrev_b32_e32 v22, 16, v22
	v_cndmask_b32_e64 v10, 0, 1, vcc_lo
	v_cmp_ne_u32_e32 vcc_lo, v26, v15
	v_add_nc_u32_e32 v26, 0xfffffc10, v29
	v_and_or_b32 v27, 0xffe, v20, v10
	v_cndmask_b32_e64 v15, 0, 1, vcc_lo
	v_sub_nc_u32_e32 v10, 0x3f1, v21
	v_cmp_gt_i32_e32 vcc_lo, 1, v26
	v_lshrrev_b32_e32 v20, 16, v24
	v_or_b32_e32 v24, 0x1000, v27
	v_or_b32_e32 v15, v23, v15
	v_lshl_or_b32 v23, v26, 12, v13
	v_med3_i32 v29, v10, 0, 13
	v_mul_f64 v[9:10], v[6:7], s[2:3]
	v_fma_f16 v7, v127, v30, -v28
	v_add_nc_u32_e32 v21, 0xfffffc10, v21
	v_cndmask_b32_e32 v6, v23, v15, vcc_lo
	v_and_or_b32 v15, 0x8000, v20, v19
	v_lshrrev_b32_e32 v23, v29, v24
	v_cvt_f32_f16_e32 v7, v7
	v_and_b32_e32 v28, 7, v6
	v_lshl_or_b32 v3, v15, 16, v3
	v_lshlrev_b32_e32 v15, v29, v23
	v_cvt_f64_f32_e32 v[19:20], v7
	v_lshrrev_b32_e32 v25, 2, v6
	v_cmp_lt_i32_e32 vcc_lo, 5, v28
	v_cmp_eq_u32_e64 s0, 3, v28
	ds_read2_b32 v[6:7], v134 offset0:118 offset1:199
	v_cmp_ne_u32_e64 s1, v15, v24
	s_or_b32 vcc_lo, s0, vcc_lo
	v_add_co_ci_u32_e32 v24, vcc_lo, 0, v25, vcc_lo
	v_add_co_u32 v17, vcc_lo, v17, s5
	v_add_co_ci_u32_e32 v18, vcc_lo, s4, v18, vcc_lo
	v_cndmask_b32_e64 v15, 0, 1, s1
	v_cmp_ne_u32_e32 vcc_lo, 0, v13
	v_and_or_b32 v9, 0x1ff, v10, v9
	v_bfe_u32 v28, v10, 20, 11
	v_cmp_eq_u32_e64 s1, 0x40f, v26
	v_or_b32_e32 v15, v23, v15
	v_lshl_or_b32 v23, v21, 12, v27
	v_cndmask_b32_e64 v13, 0, 1, vcc_lo
	v_cmp_gt_i32_e32 vcc_lo, 1, v21
	v_mul_f64 v[19:20], v[19:20], s[2:3]
	s_waitcnt lgkmcnt(0)
	v_lshrrev_b32_e32 v25, 16, v6
	global_store_dword v[17:18], v3, off
	v_lshl_or_b32 v13, v13, 9, 0x7c00
	v_cndmask_b32_e32 v15, v23, v15, vcc_lo
	v_cmp_ne_u32_e32 vcc_lo, 0, v9
	v_lshrrev_b32_e32 v23, 8, v10
	v_mul_f16_sdwa v29, v126, v25 dst_sel:DWORD dst_unused:UNUSED_PAD src0_sel:WORD_1 src1_sel:DWORD
	v_and_b32_e32 v30, 7, v15
	v_cndmask_b32_e64 v9, 0, 1, vcc_lo
	v_cmp_gt_i32_e32 vcc_lo, 31, v26
	v_fmac_f16_e32 v29, v126, v6
	v_lshrrev_b32_e32 v15, 2, v15
	v_cmp_eq_u32_e64 s0, 3, v30
	v_and_or_b32 v9, 0xffe, v23, v9
	v_cndmask_b32_e32 v24, 0x7c00, v24, vcc_lo
	v_cmp_lt_i32_e32 vcc_lo, 5, v30
	v_sub_nc_u32_e32 v23, 0x3f1, v28
	v_lshrrev_b32_e32 v30, 16, v16
	v_or_b32_e32 v31, 0x1000, v9
	v_cndmask_b32_e64 v13, v24, v13, s1
	s_or_b32 vcc_lo, s0, vcc_lo
	v_med3_i32 v32, v23, 0, 13
	v_cvt_f32_f16_e32 v23, v29
	v_add_co_ci_u32_e32 v15, vcc_lo, 0, v15, vcc_lo
	v_cmp_ne_u32_e32 vcc_lo, 0, v27
	v_lshrrev_b32_e32 v26, v32, v31
	v_cvt_f64_f32_e32 v[23:24], v23
	v_and_or_b32 v19, 0x1ff, v20, v19
	v_add_nc_u32_e32 v28, 0xfffffc10, v28
	v_cndmask_b32_e64 v27, 0, 1, vcc_lo
	v_cmp_gt_i32_e32 vcc_lo, 31, v21
	v_lshlrev_b32_e32 v29, v32, v26
	v_bfe_u32 v32, v20, 20, 11
	v_mul_f16_sdwa v6, v126, v6 dst_sel:DWORD dst_unused:UNUSED_PAD src0_sel:WORD_1 src1_sel:DWORD
	v_lshl_or_b32 v16, v27, 9, 0x7c00
	v_cndmask_b32_e32 v15, 0x7c00, v15, vcc_lo
	v_cmp_ne_u32_e32 vcc_lo, 0, v19
	v_lshrrev_b32_e32 v27, 8, v20
	v_fma_f16 v6, v126, v25, -v6
	v_and_or_b32 v13, 0x8000, v30, v13
	v_cndmask_b32_e64 v19, 0, 1, vcc_lo
	v_cmp_ne_u32_e32 vcc_lo, v29, v31
	v_cvt_f32_f16_e32 v6, v6
	v_and_b32_e32 v13, 0xffff, v13
	v_and_or_b32 v19, 0xffe, v27, v19
	v_cndmask_b32_e64 v29, 0, 1, vcc_lo
	v_cmp_eq_u32_e32 vcc_lo, 0x40f, v21
	v_sub_nc_u32_e32 v27, 0x3f1, v32
	v_or_b32_e32 v26, v26, v29
	v_cndmask_b32_e32 v21, v15, v16, vcc_lo
	v_mul_f64 v[15:16], v[23:24], s[2:3]
	v_or_b32_e32 v23, 0x1000, v19
	v_med3_i32 v24, v27, 0, 13
	v_lshl_or_b32 v29, v28, 12, v9
	v_cmp_gt_i32_e32 vcc_lo, 1, v28
	v_and_or_b32 v21, 0x8000, v22, v21
	v_lshrrev_b32_e32 v25, v24, v23
	v_cndmask_b32_e32 v26, v29, v26, vcc_lo
	v_lshl_or_b32 v3, v21, 16, v13
	v_cvt_f64_f32_e32 v[21:22], v6
	v_lshlrev_b32_e32 v24, v24, v25
	v_add_nc_u32_e32 v13, 0xfffffc10, v32
	v_and_b32_e32 v27, 7, v26
	v_cmp_ne_u32_e64 s0, v24, v23
	v_lshrrev_b32_e32 v23, 2, v26
	v_cmp_lt_i32_e32 vcc_lo, 5, v27
	v_lshl_or_b32 v24, v13, 12, v19
	v_cndmask_b32_e64 v6, 0, 1, s0
	v_cmp_eq_u32_e64 s0, 3, v27
	v_and_or_b32 v15, 0x1ff, v16, v15
	v_bfe_u32 v26, v16, 20, 11
	v_or_b32_e32 v6, v25, v6
	s_or_b32 vcc_lo, s0, vcc_lo
	v_cmp_ne_u32_e64 s1, 0, v15
	v_add_co_ci_u32_e32 v23, vcc_lo, 0, v23, vcc_lo
	v_cmp_gt_i32_e32 vcc_lo, 1, v13
	v_lshrrev_b32_e32 v25, 8, v16
	v_cndmask_b32_e64 v15, 0, 1, s1
	v_mul_f64 v[21:22], v[21:22], s[2:3]
	v_cmp_eq_u32_e64 s1, 0x40f, v28
	v_cndmask_b32_e32 v6, v24, v6, vcc_lo
	v_cmp_ne_u32_e32 vcc_lo, 0, v9
	v_and_or_b32 v15, 0xffe, v25, v15
	v_sub_nc_u32_e32 v24, 0x3f1, v26
	v_and_b32_e32 v25, 7, v6
	v_cndmask_b32_e64 v9, 0, 1, vcc_lo
	v_cmp_gt_i32_e32 vcc_lo, 31, v28
	v_or_b32_e32 v27, 0x1000, v15
	v_med3_i32 v24, v24, 0, 13
	v_cmp_eq_u32_e64 s0, 3, v25
	v_lshrrev_b32_e32 v6, 2, v6
	v_cndmask_b32_e32 v23, 0x7c00, v23, vcc_lo
	v_cmp_lt_i32_e32 vcc_lo, 5, v25
	v_lshl_or_b32 v9, v9, 9, 0x7c00
	v_lshrrev_b32_e32 v29, v24, v27
	v_lshrrev_b32_e32 v28, 16, v10
	s_or_b32 vcc_lo, s0, vcc_lo
	v_cndmask_b32_e64 v23, v23, v9, s1
	v_add_co_ci_u32_e32 v6, vcc_lo, 0, v6, vcc_lo
	v_lshlrev_b32_e32 v9, v24, v29
	v_lshrrev_b32_e32 v24, 16, v12
	v_cmp_ne_u32_e32 vcc_lo, 0, v19
	v_and_or_b32 v10, 0x1ff, v22, v21
	v_add_nc_u32_e32 v21, 0xfffffc10, v26
	v_and_or_b32 v23, 0x8000, v28, v23
	v_mul_f16_sdwa v25, v125, v24 dst_sel:DWORD dst_unused:UNUSED_PAD src0_sel:WORD_1 src1_sel:DWORD
	v_cndmask_b32_e64 v19, 0, 1, vcc_lo
	v_cmp_gt_i32_e32 vcc_lo, 31, v13
	v_lshl_or_b32 v30, v21, 12, v15
	v_and_b32_e32 v23, 0xffff, v23
	v_fmac_f16_e32 v25, v125, v12
	v_lshl_or_b32 v19, v19, 9, 0x7c00
	v_cndmask_b32_e32 v6, 0x7c00, v6, vcc_lo
	v_cmp_ne_u32_e32 vcc_lo, v9, v27
	v_bfe_u32 v27, v22, 20, 11
	v_mul_f16_sdwa v12, v125, v12 dst_sel:DWORD dst_unused:UNUSED_PAD src0_sel:WORD_1 src1_sel:DWORD
	v_cndmask_b32_e64 v9, 0, 1, vcc_lo
	v_cmp_ne_u32_e32 vcc_lo, 0, v10
	v_cvt_f32_f16_e32 v10, v25
	v_lshrrev_b32_e32 v25, 8, v22
	v_fma_f16 v24, v125, v24, -v12
	v_or_b32_e32 v29, v29, v9
	v_cndmask_b32_e64 v26, 0, 1, vcc_lo
	v_cvt_f64_f32_e32 v[9:10], v10
	v_cmp_gt_i32_e32 vcc_lo, 1, v21
	v_lshrrev_b32_e32 v22, 16, v22
	v_and_or_b32 v25, 0xffe, v25, v26
	v_sub_nc_u32_e32 v26, 0x3f1, v27
	v_cndmask_b32_e32 v29, v30, v29, vcc_lo
	v_cmp_eq_u32_e32 vcc_lo, 0x40f, v13
	v_or_b32_e32 v30, 0x1000, v25
	v_med3_i32 v26, v26, 0, 13
	v_cndmask_b32_e32 v6, v6, v19, vcc_lo
	v_lshrrev_b32_e32 v19, 16, v20
	v_and_b32_e32 v20, 7, v29
	v_lshrrev_b32_e32 v31, v26, v30
	v_add_co_u32 v12, vcc_lo, v17, s5
	v_and_or_b32 v6, 0x8000, v19, v6
	v_cvt_f32_f16_e32 v19, v24
	v_add_co_ci_u32_e32 v13, vcc_lo, s4, v18, vcc_lo
	v_cmp_lt_i32_e32 vcc_lo, 5, v20
	v_cmp_eq_u32_e64 s0, 3, v20
	v_cvt_f64_f32_e32 v[19:20], v19
	v_lshlrev_b32_e32 v26, v26, v31
	v_mul_f64 v[17:18], v[9:10], s[2:3]
	v_lshrrev_b32_e32 v9, 2, v29
	s_or_b32 vcc_lo, s0, vcc_lo
	v_lshl_or_b32 v6, v6, 16, v23
	v_cmp_ne_u32_e64 s1, v26, v30
	v_add_nc_u32_e32 v26, 0xfffffc10, v27
	v_add_co_ci_u32_e32 v24, vcc_lo, 0, v9, vcc_lo
	v_cmp_ne_u32_e32 vcc_lo, 0, v15
	v_cndmask_b32_e64 v10, 0, 1, s1
	v_lshl_or_b32 v28, v26, 12, v25
	v_cndmask_b32_e64 v15, 0, 1, vcc_lo
	v_or_b32_e32 v27, v31, v10
	v_cmp_gt_i32_e32 vcc_lo, 1, v26
	ds_read2_b32 v[9:10], v131 offset0:92 offset1:173
	v_lshl_or_b32 v15, v15, 9, 0x7c00
	v_cndmask_b32_e32 v27, v28, v27, vcc_lo
	v_cmp_gt_i32_e32 vcc_lo, 31, v21
	v_mul_f64 v[19:20], v[19:20], s[2:3]
	v_and_or_b32 v17, 0x1ff, v18, v17
	v_bfe_u32 v29, v18, 20, 11
	v_and_b32_e32 v23, 7, v27
	v_cndmask_b32_e32 v24, 0x7c00, v24, vcc_lo
	v_cmp_eq_u32_e32 vcc_lo, 0x40f, v21
	v_cmp_ne_u32_e64 s1, 0, v17
	v_lshrrev_b32_e32 v28, 16, v16
	v_cmp_eq_u32_e64 s0, 3, v23
	v_cndmask_b32_e32 v21, v24, v15, vcc_lo
	v_cmp_lt_i32_e32 vcc_lo, 5, v23
	v_lshrrev_b32_e32 v24, 2, v27
	v_cndmask_b32_e64 v17, 0, 1, s1
	v_lshrrev_b32_e32 v23, 8, v18
	s_waitcnt lgkmcnt(0)
	v_lshrrev_b32_e32 v30, 16, v9
	s_or_b32 vcc_lo, s0, vcc_lo
	v_and_or_b32 v21, 0x8000, v28, v21
	v_add_co_ci_u32_e32 v24, vcc_lo, 0, v24, vcc_lo
	v_and_or_b32 v17, 0xffe, v23, v17
	v_sub_nc_u32_e32 v23, 0x3f1, v29
	v_cmp_ne_u32_e32 vcc_lo, 0, v25
	v_mul_f16_sdwa v27, v124, v30 dst_sel:DWORD dst_unused:UNUSED_PAD src0_sel:WORD_1 src1_sel:DWORD
	v_and_or_b32 v19, 0x1ff, v20, v19
	v_or_b32_e32 v31, 0x1000, v17
	v_med3_i32 v23, v23, 0, 13
	v_cndmask_b32_e64 v25, 0, 1, vcc_lo
	v_cmp_gt_i32_e32 vcc_lo, 31, v26
	v_fmac_f16_e32 v27, v124, v9
	v_lshrrev_b32_e32 v34, 8, v20
	v_lshrrev_b32_e32 v32, v23, v31
	v_lshl_or_b32 v25, v25, 9, 0x7c00
	v_cndmask_b32_e32 v33, 0x7c00, v24, vcc_lo
	v_cmp_ne_u32_e32 vcc_lo, 0, v19
	v_cvt_f32_f16_e32 v24, v27
	v_lshlrev_b32_e32 v27, v23, v32
	v_bfe_u32 v35, v20, 20, 11
	v_mul_f16_sdwa v9, v124, v9 dst_sel:DWORD dst_unused:UNUSED_PAD src0_sel:WORD_1 src1_sel:DWORD
	v_cndmask_b32_e64 v19, 0, 1, vcc_lo
	v_cmp_eq_u32_e32 vcc_lo, 0x40f, v26
	v_cvt_f64_f32_e32 v[23:24], v24
	v_sub_nc_u32_e32 v28, 0x3f1, v35
	v_add_co_u32 v15, s1, v12, s5
	v_cndmask_b32_e32 v25, v33, v25, vcc_lo
	v_cmp_ne_u32_e32 vcc_lo, v27, v31
	v_and_or_b32 v19, 0xffe, v34, v19
	v_add_nc_u32_e32 v27, 0xfffffc10, v29
	v_med3_i32 v28, v28, 0, 13
	v_and_or_b32 v25, 0x8000, v22, v25
	v_cndmask_b32_e64 v26, 0, 1, vcc_lo
	v_or_b32_e32 v29, 0x1000, v19
	v_lshl_or_b32 v31, v27, 12, v17
	v_cmp_gt_i32_e32 vcc_lo, 1, v27
	v_fma_f16 v9, v124, v30, -v9
	v_or_b32_e32 v26, v32, v26
	v_and_b32_e32 v32, 0xffff, v21
	v_add_co_ci_u32_e64 v16, s1, s4, v13, s1
	global_store_dword v[12:13], v3, off
	global_store_dword v[15:16], v6, off
	v_cndmask_b32_e32 v26, v31, v26, vcc_lo
	v_lshrrev_b32_e32 v31, v28, v29
	v_mul_f64 v[21:22], v[23:24], s[2:3]
	v_cvt_f32_f16_e32 v3, v9
	v_add_nc_u32_e32 v9, 0xfffffc10, v35
	v_and_b32_e32 v23, 7, v26
	v_lshlrev_b32_e32 v24, v28, v31
	v_lshrrev_b32_e32 v28, 16, v4
	v_cvt_f64_f32_e32 v[12:13], v3
	v_lshl_or_b32 v3, v25, 16, v32
	v_cmp_lt_i32_e32 vcc_lo, 5, v23
	v_cmp_ne_u32_e64 s0, v24, v29
	v_lshl_or_b32 v24, v9, 12, v19
	v_lshrrev_b32_e32 v20, 16, v20
	v_cndmask_b32_e64 v6, 0, 1, s0
	v_cmp_eq_u32_e64 s0, 3, v23
	v_lshrrev_b32_e32 v23, 2, v26
	v_or_b32_e32 v6, v31, v6
	s_or_b32 vcc_lo, s0, vcc_lo
	v_add_co_ci_u32_e32 v23, vcc_lo, 0, v23, vcc_lo
	v_cmp_ne_u32_e32 vcc_lo, 0, v17
	v_and_or_b32 v21, 0x1ff, v22, v21
	v_lshrrev_b32_e32 v25, 8, v22
	v_bfe_u32 v26, v22, 20, 11
	v_mul_f64 v[12:13], v[12:13], s[2:3]
	v_cndmask_b32_e64 v17, 0, 1, vcc_lo
	v_cmp_gt_i32_e32 vcc_lo, 1, v9
	v_lshrrev_b32_e32 v22, 16, v22
	v_lshl_or_b32 v17, v17, 9, 0x7c00
	v_cndmask_b32_e32 v6, v24, v6, vcc_lo
	v_add_co_u32 v15, vcc_lo, v15, s5
	v_add_co_ci_u32_e32 v16, vcc_lo, s4, v16, vcc_lo
	v_cmp_gt_i32_e32 vcc_lo, 31, v27
	v_and_b32_e32 v24, 7, v6
	v_lshrrev_b32_e32 v6, 2, v6
	global_store_dword v[15:16], v3, off
	v_cndmask_b32_e32 v23, 0x7c00, v23, vcc_lo
	v_cmp_ne_u32_e32 vcc_lo, 0, v21
	v_cmp_eq_u32_e64 s0, 3, v24
	v_and_or_b32 v12, 0x1ff, v13, v12
	v_cndmask_b32_e64 v21, 0, 1, vcc_lo
	v_cmp_eq_u32_e32 vcc_lo, 0x40f, v27
	v_lshrrev_b32_e32 v27, 16, v18
	v_sub_nc_u32_e32 v18, 0x3f1, v26
	v_bfe_u32 v30, v13, 20, 11
	v_and_or_b32 v21, 0xffe, v25, v21
	v_cndmask_b32_e32 v23, v23, v17, vcc_lo
	v_cmp_lt_i32_e32 vcc_lo, 5, v24
	v_mul_f16_sdwa v17, v123, v28 dst_sel:DWORD dst_unused:UNUSED_PAD src0_sel:WORD_1 src1_sel:DWORD
	v_med3_i32 v25, v18, 0, 13
	v_or_b32_e32 v24, 0x1000, v21
	v_and_or_b32 v23, 0x8000, v27, v23
	s_or_b32 vcc_lo, s0, vcc_lo
	v_fmac_f16_e32 v17, v123, v4
	v_add_co_ci_u32_e32 v6, vcc_lo, 0, v6, vcc_lo
	v_cmp_ne_u32_e32 vcc_lo, 0, v19
	v_lshrrev_b32_e32 v29, v25, v24
	v_cvt_f32_f16_e32 v17, v17
	v_lshrrev_b32_e32 v27, 8, v13
	v_mul_f16_sdwa v4, v123, v4 dst_sel:DWORD dst_unused:UNUSED_PAD src0_sel:WORD_1 src1_sel:DWORD
	v_cndmask_b32_e64 v19, 0, 1, vcc_lo
	v_cmp_gt_i32_e32 vcc_lo, 31, v9
	v_cvt_f64_f32_e32 v[17:18], v17
	v_lshlrev_b32_e32 v25, v25, v29
	v_fma_f16 v4, v123, v28, -v4
	v_lshl_or_b32 v19, v19, 9, 0x7c00
	v_cndmask_b32_e32 v6, 0x7c00, v6, vcc_lo
	v_cmp_ne_u32_e32 vcc_lo, 0, v12
	v_cvt_f32_f16_e32 v4, v4
	v_cndmask_b32_e64 v12, 0, 1, vcc_lo
	v_cmp_eq_u32_e32 vcc_lo, 0x40f, v9
	v_and_or_b32 v12, 0xffe, v27, v12
	v_cndmask_b32_e32 v6, v6, v19, vcc_lo
	v_cmp_ne_u32_e32 vcc_lo, v25, v24
	v_sub_nc_u32_e32 v19, 0x3f1, v30
	v_add_nc_u32_e32 v24, 0xfffffc10, v26
	v_or_b32_e32 v25, 0x1000, v12
	v_and_or_b32 v6, 0x8000, v20, v6
	v_cndmask_b32_e64 v9, 0, 1, vcc_lo
	v_med3_i32 v19, v19, 0, 13
	v_lshl_or_b32 v26, v24, 12, v21
	v_cmp_gt_i32_e32 vcc_lo, 1, v24
	v_mul_f64 v[17:18], v[17:18], s[2:3]
	v_or_b32_e32 v9, v29, v9
	v_and_b32_e32 v20, 0xffff, v23
	v_lshrrev_b32_e32 v23, v19, v25
	v_lshrrev_b32_e32 v27, 16, v14
	v_cndmask_b32_e32 v9, v26, v9, vcc_lo
	v_add_co_u32 v15, vcc_lo, v15, s5
	v_lshlrev_b32_e32 v3, v19, v23
	v_add_co_ci_u32_e32 v16, vcc_lo, s4, v16, vcc_lo
	v_and_b32_e32 v19, 7, v9
	v_lshrrev_b32_e32 v9, 2, v9
	v_cmp_ne_u32_e64 s1, v3, v25
	v_add_nc_u32_e32 v25, 0xfffffc10, v30
	v_cvt_f64_f32_e32 v[3:4], v4
	v_cmp_lt_i32_e32 vcc_lo, 5, v19
	v_cmp_eq_u32_e64 s0, 3, v19
	v_cndmask_b32_e64 v19, 0, 1, s1
	v_lshl_or_b32 v6, v6, 16, v20
	v_lshl_or_b32 v20, v25, 12, v12
	v_and_or_b32 v17, 0x1ff, v18, v17
	s_or_b32 vcc_lo, s0, vcc_lo
	v_or_b32_e32 v19, v23, v19
	v_add_co_ci_u32_e32 v9, vcc_lo, 0, v9, vcc_lo
	v_cmp_gt_i32_e32 vcc_lo, 1, v25
	v_bfe_u32 v23, v18, 20, 11
	v_mul_f16_sdwa v29, v122, v27 dst_sel:DWORD dst_unused:UNUSED_PAD src0_sel:WORD_1 src1_sel:DWORD
	global_store_dword v[15:16], v6, off
	v_cndmask_b32_e32 v19, v20, v19, vcc_lo
	v_cmp_ne_u32_e32 vcc_lo, 0, v17
	v_lshrrev_b32_e32 v20, 8, v18
	v_fmac_f16_e32 v29, v122, v14
	v_and_b32_e32 v26, 7, v19
	v_cndmask_b32_e64 v17, 0, 1, vcc_lo
	v_cmp_ne_u32_e32 vcc_lo, 0, v21
	v_mul_f64 v[3:4], v[3:4], s[2:3]
	v_lshrrev_b32_e32 v19, 2, v19
	v_cmp_eq_u32_e64 s0, 3, v26
	v_and_or_b32 v17, 0xffe, v20, v17
	v_cndmask_b32_e64 v21, 0, 1, vcc_lo
	v_cmp_gt_i32_e32 vcc_lo, 31, v24
	v_sub_nc_u32_e32 v20, 0x3f1, v23
	v_add_nc_u32_e32 v23, 0xfffffc10, v23
	v_or_b32_e32 v28, 0x1000, v17
	v_lshl_or_b32 v21, v21, 9, 0x7c00
	v_cndmask_b32_e32 v9, 0x7c00, v9, vcc_lo
	v_cmp_lt_i32_e32 vcc_lo, 5, v26
	v_med3_i32 v20, v20, 0, 13
	s_or_b32 vcc_lo, s0, vcc_lo
	v_lshrrev_b32_e32 v26, v20, v28
	v_add_co_ci_u32_e32 v30, vcc_lo, 0, v19, vcc_lo
	v_cmp_eq_u32_e32 vcc_lo, 0x40f, v24
	v_cvt_f32_f16_e32 v19, v29
	v_lshlrev_b32_e32 v31, v20, v26
	v_and_or_b32 v3, 0x1ff, v4, v3
	v_bfe_u32 v29, v4, 20, 11
	v_cndmask_b32_e32 v9, v9, v21, vcc_lo
	v_cmp_ne_u32_e32 vcc_lo, 0, v12
	v_cvt_f64_f32_e32 v[19:20], v19
	v_and_or_b32 v9, 0x8000, v22, v9
	v_cndmask_b32_e64 v12, 0, 1, vcc_lo
	v_cmp_gt_i32_e32 vcc_lo, 31, v25
	v_and_b32_e32 v9, 0xffff, v9
	v_lshl_or_b32 v12, v12, 9, 0x7c00
	v_cndmask_b32_e32 v21, 0x7c00, v30, vcc_lo
	v_cmp_ne_u32_e32 vcc_lo, v31, v28
	v_lshrrev_b32_e32 v28, 8, v4
	v_lshrrev_b32_e32 v4, 16, v4
	v_cndmask_b32_e64 v24, 0, 1, vcc_lo
	v_cmp_ne_u32_e32 vcc_lo, 0, v3
	v_or_b32_e32 v24, v26, v24
	v_cndmask_b32_e64 v3, 0, 1, vcc_lo
	v_cmp_eq_u32_e32 vcc_lo, 0x40f, v25
	v_lshl_or_b32 v26, v23, 12, v17
	v_and_or_b32 v25, 0xffe, v28, v3
	v_cndmask_b32_e32 v21, v21, v12, vcc_lo
	v_sub_nc_u32_e32 v3, 0x3f1, v29
	v_cmp_gt_i32_e32 vcc_lo, 1, v23
	v_lshrrev_b32_e32 v28, 16, v13
	v_mul_f64 v[12:13], v[19:20], s[2:3]
	v_or_b32_e32 v22, 0x1000, v25
	v_med3_i32 v30, v3, 0, 13
	v_mul_f16_sdwa v3, v122, v14 dst_sel:DWORD dst_unused:UNUSED_PAD src0_sel:WORD_1 src1_sel:DWORD
	v_cndmask_b32_e32 v14, v26, v24, vcc_lo
	v_and_or_b32 v19, 0x8000, v28, v21
	v_lshrrev_b32_e32 v21, v30, v22
	v_fma_f16 v20, v122, v27, -v3
	v_and_b32_e32 v24, 7, v14
	v_lshl_or_b32 v3, v19, 16, v9
	v_lshrrev_b32_e32 v14, 2, v14
	v_lshlrev_b32_e32 v9, v30, v21
	v_cvt_f32_f16_e32 v6, v20
	v_cmp_lt_i32_e32 vcc_lo, 5, v24
	v_cmp_eq_u32_e64 s0, 3, v24
	v_lshrrev_b32_e32 v27, 16, v0
	v_cmp_ne_u32_e64 s1, v9, v22
	v_cvt_f64_f32_e32 v[19:20], v6
	v_add_nc_u32_e32 v9, 0xfffffc10, v29
	s_or_b32 vcc_lo, s0, vcc_lo
	v_add_co_ci_u32_e32 v22, vcc_lo, 0, v14, vcc_lo
	v_add_co_u32 v14, vcc_lo, v15, s5
	v_add_co_ci_u32_e32 v15, vcc_lo, s4, v16, vcc_lo
	v_and_or_b32 v12, 0x1ff, v13, v12
	v_cmp_ne_u32_e32 vcc_lo, 0, v17
	v_cndmask_b32_e64 v6, 0, 1, s1
	v_bfe_u32 v28, v13, 20, 11
	v_lshrrev_b32_e32 v26, 8, v13
	v_cmp_eq_u32_e64 s1, 0x40f, v23
	v_cndmask_b32_e64 v24, 0, 1, vcc_lo
	v_cmp_ne_u32_e32 vcc_lo, 0, v12
	v_or_b32_e32 v6, v21, v6
	v_lshl_or_b32 v21, v9, 12, v25
	v_cndmask_b32_e64 v12, 0, 1, vcc_lo
	v_cmp_gt_i32_e32 vcc_lo, 1, v9
	v_mul_f64 v[16:17], v[19:20], s[2:3]
	v_mul_f16_sdwa v19, v121, v27 dst_sel:DWORD dst_unused:UNUSED_PAD src0_sel:WORD_1 src1_sel:DWORD
	v_sub_nc_u32_e32 v20, 0x3f1, v28
	v_and_or_b32 v12, 0xffe, v26, v12
	v_cndmask_b32_e32 v6, v21, v6, vcc_lo
	v_cmp_gt_i32_e32 vcc_lo, 31, v23
	v_fmac_f16_e32 v19, v121, v0
	v_med3_i32 v29, v20, 0, 13
	v_lshl_or_b32 v20, v24, 9, 0x7c00
	v_or_b32_e32 v26, 0x1000, v12
	v_cndmask_b32_e32 v21, 0x7c00, v22, vcc_lo
	v_and_b32_e32 v22, 7, v6
	v_cvt_f32_f16_e32 v19, v19
	v_lshrrev_b32_e32 v6, 2, v6
	v_add_nc_u32_e32 v28, 0xfffffc10, v28
	v_cndmask_b32_e64 v21, v21, v20, s1
	v_cmp_lt_i32_e32 vcc_lo, 5, v22
	v_cmp_eq_u32_e64 s0, 3, v22
	v_cvt_f64_f32_e32 v[19:20], v19
	v_lshrrev_b32_e32 v22, v29, v26
	v_mul_f16_sdwa v0, v121, v0 dst_sel:DWORD dst_unused:UNUSED_PAD src0_sel:WORD_1 src1_sel:DWORD
	s_or_b32 vcc_lo, s0, vcc_lo
	v_and_or_b32 v16, 0x1ff, v17, v16
	v_add_co_ci_u32_e32 v6, vcc_lo, 0, v6, vcc_lo
	v_cmp_ne_u32_e32 vcc_lo, 0, v25
	v_lshlrev_b32_e32 v23, v29, v22
	v_lshrrev_b32_e32 v25, 16, v18
	v_lshl_or_b32 v29, v28, 12, v12
	v_fma_f16 v0, v121, v27, -v0
	v_cndmask_b32_e64 v24, 0, 1, vcc_lo
	v_cmp_gt_i32_e32 vcc_lo, 31, v9
	v_cvt_f32_f16_e32 v0, v0
	v_lshl_or_b32 v24, v24, 9, 0x7c00
	v_cndmask_b32_e32 v6, 0x7c00, v6, vcc_lo
	v_cmp_ne_u32_e32 vcc_lo, v23, v26
	v_lshrrev_b32_e32 v23, 8, v17
	v_bfe_u32 v26, v17, 20, 11
	v_lshrrev_b32_e32 v17, 16, v17
	v_cndmask_b32_e64 v18, 0, 1, vcc_lo
	v_cmp_ne_u32_e32 vcc_lo, 0, v16
	v_or_b32_e32 v22, v22, v18
	v_cndmask_b32_e64 v16, 0, 1, vcc_lo
	v_cmp_eq_u32_e32 vcc_lo, 0x40f, v9
	v_mul_f64 v[18:19], v[19:20], s[2:3]
	v_and_or_b32 v20, 0x8000, v25, v21
	v_and_or_b32 v16, 0xffe, v23, v16
	v_cndmask_b32_e32 v6, v6, v24, vcc_lo
	v_cmp_gt_i32_e32 vcc_lo, 1, v28
	v_sub_nc_u32_e32 v23, 0x3f1, v26
	v_or_b32_e32 v30, 0x1000, v16
	v_and_or_b32 v4, 0x8000, v4, v6
	v_cndmask_b32_e32 v9, v29, v22, vcc_lo
	v_med3_i32 v23, v23, 0, 13
	v_and_b32_e32 v6, 0xffff, v20
	v_cvt_f64_f32_e32 v[20:21], v0
	v_and_b32_e32 v24, 7, v9
	v_lshrrev_b32_e32 v22, v23, v30
	v_lshl_or_b32 v4, v4, 16, v6
	v_lshrrev_b32_e32 v6, 2, v9
	v_cmp_lt_i32_e32 vcc_lo, 5, v24
	v_cmp_eq_u32_e64 s0, 3, v24
	v_lshlrev_b32_e32 v0, v23, v22
	v_and_or_b32 v9, 0x1ff, v19, v18
	v_add_nc_u32_e32 v18, 0xfffffc10, v26
	v_bfe_u32 v24, v19, 20, 11
	s_or_b32 vcc_lo, s0, vcc_lo
	v_cmp_ne_u32_e64 s1, v0, v30
	v_add_co_ci_u32_e32 v6, vcc_lo, 0, v6, vcc_lo
	v_cmp_ne_u32_e32 vcc_lo, 0, v9
	v_lshl_or_b32 v23, v18, 12, v16
	v_cndmask_b32_e64 v0, 0, 1, s1
	v_lshrrev_b32_e32 v30, 16, v11
	v_cmp_eq_u32_e64 s1, 0x40f, v18
	v_cndmask_b32_e64 v9, 0, 1, vcc_lo
	v_cmp_ne_u32_e32 vcc_lo, 0, v12
	v_or_b32_e32 v0, v22, v0
	v_lshrrev_b32_e32 v22, 8, v19
	v_mul_f64 v[20:21], v[20:21], s[2:3]
	v_cndmask_b32_e64 v12, 0, 1, vcc_lo
	v_cmp_gt_i32_e32 vcc_lo, 1, v18
	v_and_or_b32 v9, 0xffe, v22, v9
	v_sub_nc_u32_e32 v22, 0x3f1, v24
	v_lshl_or_b32 v12, v12, 9, 0x7c00
	v_cndmask_b32_e32 v0, v23, v0, vcc_lo
	v_cmp_gt_i32_e32 vcc_lo, 31, v28
	v_or_b32_e32 v25, 0x1000, v9
	v_med3_i32 v26, v22, 0, 13
	v_mad_u64_u32 v[22:23], null, 0xffffdf18, s8, v[14:15]
	v_cndmask_b32_e32 v6, 0x7c00, v6, vcc_lo
	v_and_b32_e32 v27, 7, v0
	v_cmp_eq_u32_e32 vcc_lo, 0x40f, v28
	v_lshrrev_b32_e32 v29, v26, v25
	v_lshrrev_b32_e32 v0, 2, v0
	v_cmp_eq_u32_e64 s0, 3, v27
	v_cndmask_b32_e32 v6, v6, v12, vcc_lo
	v_cmp_lt_i32_e32 vcc_lo, 5, v27
	v_lshrrev_b32_e32 v12, 16, v13
	v_lshlrev_b32_e32 v26, v26, v29
	v_mul_f16_sdwa v13, v120, v30 dst_sel:DWORD dst_unused:UNUSED_PAD src0_sel:WORD_1 src1_sel:DWORD
	v_bfe_u32 v27, v21, 20, 11
	s_or_b32 vcc_lo, s0, vcc_lo
	v_and_or_b32 v6, 0x8000, v12, v6
	v_add_co_ci_u32_e32 v0, vcc_lo, 0, v0, vcc_lo
	v_and_or_b32 v12, 0x1ff, v21, v20
	v_cmp_ne_u32_e32 vcc_lo, v26, v25
	v_fmac_f16_e32 v13, v120, v11
	v_add_nc_u32_e32 v26, 0xfffffc10, v24
	v_lshrrev_b32_e32 v25, 8, v21
	v_mul_f16_sdwa v11, v120, v11 dst_sel:DWORD dst_unused:UNUSED_PAD src0_sel:WORD_1 src1_sel:DWORD
	v_cndmask_b32_e64 v20, 0, 1, vcc_lo
	v_cmp_ne_u32_e32 vcc_lo, 0, v12
	v_cvt_f32_f16_e32 v13, v13
	v_lshl_or_b32 v28, v26, 12, v9
	v_fma_f16 v11, v120, v30, -v11
	v_or_b32_e32 v20, v29, v20
	v_cndmask_b32_e64 v24, 0, 1, vcc_lo
	v_cmp_gt_i32_e32 vcc_lo, 1, v26
	v_cvt_f64_f32_e32 v[12:13], v13
	v_and_b32_e32 v6, 0xffff, v6
	v_add_nc_u32_e32 v23, s6, v23
	v_and_or_b32 v29, 0xffe, v25, v24
	v_sub_nc_u32_e32 v24, 0x3f1, v27
	v_cndmask_b32_e32 v20, v28, v20, vcc_lo
	v_cmp_ne_u32_e32 vcc_lo, 0, v16
	global_store_dword v[14:15], v3, off
	global_store_dword v[22:23], v4, off
	v_or_b32_e32 v28, 0x1000, v29
	v_med3_i32 v24, v24, 0, 13
	v_and_b32_e32 v25, 7, v20
	v_cndmask_b32_e64 v16, 0, 1, vcc_lo
	v_cmp_gt_i32_e32 vcc_lo, 31, v18
	v_lshrrev_b32_e32 v18, 2, v20
	v_lshrrev_b32_e32 v30, v24, v28
	v_cmp_eq_u32_e64 s0, 3, v25
	v_lshl_or_b32 v16, v16, 9, 0x7c00
	v_cndmask_b32_e32 v0, 0x7c00, v0, vcc_lo
	v_cmp_lt_i32_e32 vcc_lo, 5, v25
	v_cvt_f32_f16_e32 v25, v11
	v_cndmask_b32_e64 v0, v0, v16, s1
	v_lshlrev_b32_e32 v16, v24, v30
	s_or_b32 vcc_lo, s0, vcc_lo
	v_mul_f64 v[11:12], v[12:13], s[2:3]
	v_cvt_f64_f32_e32 v[24:25], v25
	v_add_co_ci_u32_e32 v13, vcc_lo, 0, v18, vcc_lo
	v_cmp_ne_u32_e32 vcc_lo, v16, v28
	v_add_nc_u32_e32 v18, 0xfffffc10, v27
	v_and_or_b32 v0, 0x8000, v17, v0
	v_cndmask_b32_e64 v16, 0, 1, vcc_lo
	v_cmp_ne_u32_e32 vcc_lo, 0, v9
	v_lshl_or_b32 v20, v18, 12, v29
	v_lshl_or_b32 v6, v0, 16, v6
	v_lshrrev_b32_e32 v0, 16, v1
	v_or_b32_e32 v16, v30, v16
	v_cndmask_b32_e64 v9, 0, 1, vcc_lo
	v_cmp_gt_i32_e32 vcc_lo, 31, v26
	v_mul_f16_sdwa v14, v119, v0 dst_sel:DWORD dst_unused:UNUSED_PAD src0_sel:WORD_1 src1_sel:DWORD
	v_lshl_or_b32 v9, v9, 9, 0x7c00
	v_cndmask_b32_e32 v13, 0x7c00, v13, vcc_lo
	v_cmp_gt_i32_e32 vcc_lo, 1, v18
	v_and_or_b32 v11, 0x1ff, v12, v11
	v_lshrrev_b32_e32 v4, 8, v12
	v_fmac_f16_e32 v14, v119, v1
	v_mul_f16_sdwa v1, v119, v1 dst_sel:DWORD dst_unused:UNUSED_PAD src0_sel:WORD_1 src1_sel:DWORD
	v_cndmask_b32_e32 v20, v20, v16, vcc_lo
	v_cmp_eq_u32_e32 vcc_lo, 0x40f, v26
	v_mul_f64 v[16:17], v[24:25], s[2:3]
	v_cmp_ne_u32_e64 s0, 0, v11
	v_bfe_u32 v11, v12, 20, 11
	v_lshrrev_b32_e32 v15, 2, v20
	v_cndmask_b32_e32 v9, v13, v9, vcc_lo
	v_lshrrev_b32_e32 v13, 16, v19
	v_and_b32_e32 v19, 7, v20
	v_cndmask_b32_e64 v3, 0, 1, s0
	v_lshrrev_b32_e32 v12, 16, v12
	v_and_or_b32 v9, 0x8000, v13, v9
	v_cmp_lt_i32_e32 vcc_lo, 5, v19
	v_cmp_eq_u32_e64 s0, 3, v19
	v_and_or_b32 v19, 0xffe, v4, v3
	v_sub_nc_u32_e32 v3, 0x3f1, v11
	v_add_nc_u32_e32 v11, 0xfffffc10, v11
	v_and_b32_e32 v9, 0xffff, v9
	s_or_b32 vcc_lo, s0, vcc_lo
	v_or_b32_e32 v20, 0x1000, v19
	v_add_co_ci_u32_e32 v15, vcc_lo, 0, v15, vcc_lo
	v_cmp_ne_u32_e32 vcc_lo, 0, v29
	v_med3_i32 v24, v3, 0, 13
	v_cvt_f32_f16_e32 v3, v14
	v_and_or_b32 v14, 0x1ff, v17, v16
	v_lshrrev_b32_e32 v26, 8, v17
	v_cndmask_b32_e64 v16, 0, 1, vcc_lo
	v_cmp_gt_i32_e32 vcc_lo, 31, v18
	v_lshrrev_b32_e32 v25, v24, v20
	v_bfe_u32 v27, v17, 20, 11
	v_cvt_f64_f32_e32 v[3:4], v3
	v_lshl_or_b32 v16, v16, 9, 0x7c00
	v_cndmask_b32_e32 v15, 0x7c00, v15, vcc_lo
	v_cmp_ne_u32_e32 vcc_lo, 0, v14
	v_lshlrev_b32_e32 v24, v24, v25
	v_sub_nc_u32_e32 v13, 0x3f1, v27
	v_lshrrev_b32_e32 v17, 16, v17
	v_cndmask_b32_e64 v14, 0, 1, vcc_lo
	v_cmp_ne_u32_e32 vcc_lo, v24, v20
	v_med3_i32 v13, v13, 0, 13
	v_and_or_b32 v26, 0xffe, v26, v14
	v_cndmask_b32_e64 v14, 0, 1, vcc_lo
	v_cmp_eq_u32_e32 vcc_lo, 0x40f, v18
	v_lshl_or_b32 v18, v11, 12, v19
	v_or_b32_e32 v20, 0x1000, v26
	v_or_b32_e32 v14, v25, v14
	v_cndmask_b32_e32 v15, v15, v16, vcc_lo
	v_lshrrev_b32_e32 v16, 16, v21
	v_cmp_gt_i32_e32 vcc_lo, 1, v11
	v_lshrrev_b32_e32 v21, v13, v20
	v_mul_f64 v[3:4], v[3:4], s[2:3]
	v_and_or_b32 v15, 0x8000, v16, v15
	v_cndmask_b32_e32 v18, v18, v14, vcc_lo
	v_lshlrev_b32_e32 v13, v13, v21
	v_fma_f16 v14, v119, v0, -v1
	v_add_co_u32 v0, vcc_lo, v22, s5
	v_and_b32_e32 v16, 7, v18
	v_cmp_ne_u32_e64 s0, v13, v20
	v_add_co_ci_u32_e32 v1, vcc_lo, s4, v23, vcc_lo
	v_cvt_f32_f16_e32 v14, v14
	v_cmp_lt_i32_e32 vcc_lo, 5, v16
	v_cndmask_b32_e64 v20, 0, 1, s0
	v_cmp_eq_u32_e64 s0, 3, v16
	v_lshrrev_b32_e32 v16, 2, v18
	v_cvt_f64_f32_e32 v[13:14], v14
	v_add_nc_u32_e32 v22, 0xfffffc10, v27
	v_or_b32_e32 v18, v21, v20
	s_or_b32 vcc_lo, s0, vcc_lo
	v_lshl_or_b32 v9, v15, 16, v9
	v_add_co_ci_u32_e32 v16, vcc_lo, 0, v16, vcc_lo
	v_cmp_ne_u32_e32 vcc_lo, 0, v19
	v_lshl_or_b32 v20, v22, 12, v26
	v_and_or_b32 v3, 0x1ff, v4, v3
	v_bfe_u32 v21, v4, 20, 11
	global_store_dword v[0:1], v6, off
	v_cndmask_b32_e64 v19, 0, 1, vcc_lo
	v_cmp_gt_i32_e32 vcc_lo, 1, v22
	v_cndmask_b32_e32 v18, v20, v18, vcc_lo
	v_cmp_gt_i32_e32 vcc_lo, 31, v11
	v_lshrrev_b32_e32 v20, 8, v4
	v_lshrrev_b32_e32 v4, 16, v4
	v_mul_f64 v[13:14], v[13:14], s[2:3]
	v_cndmask_b32_e32 v15, 0x7c00, v16, vcc_lo
	v_cmp_ne_u32_e32 vcc_lo, 0, v3
	v_lshl_or_b32 v16, v19, 9, 0x7c00
	v_and_b32_e32 v19, 7, v18
	v_cndmask_b32_e64 v3, 0, 1, vcc_lo
	v_cmp_eq_u32_e32 vcc_lo, 0x40f, v11
	v_cmp_eq_u32_e64 s0, 3, v19
	v_and_or_b32 v3, 0xffe, v20, v3
	v_cndmask_b32_e32 v11, v15, v16, vcc_lo
	v_cmp_lt_i32_e32 vcc_lo, 5, v19
	v_lshrrev_b32_e32 v16, 2, v18
	v_lshrrev_b32_e32 v20, 16, v8
	v_sub_nc_u32_e32 v15, 0x3f1, v21
	v_or_b32_e32 v18, 0x1000, v3
	s_or_b32 vcc_lo, s0, vcc_lo
	v_and_or_b32 v25, 0x8000, v12, v11
	v_add_co_ci_u32_e32 v16, vcc_lo, 0, v16, vcc_lo
	v_mul_f16_sdwa v19, v118, v20 dst_sel:DWORD dst_unused:UNUSED_PAD src0_sel:WORD_1 src1_sel:DWORD
	v_cmp_ne_u32_e32 vcc_lo, 0, v26
	v_med3_i32 v15, v15, 0, 13
	v_and_or_b32 v13, 0x1ff, v14, v13
	v_fmac_f16_e32 v19, v118, v8
	v_cndmask_b32_e64 v23, 0, 1, vcc_lo
	v_cmp_gt_i32_e32 vcc_lo, 31, v22
	v_lshrrev_b32_e32 v24, v15, v18
	v_mul_f16_sdwa v8, v118, v8 dst_sel:DWORD dst_unused:UNUSED_PAD src0_sel:WORD_1 src1_sel:DWORD
	v_cvt_f32_f16_e32 v19, v19
	v_lshl_or_b32 v23, v23, 9, 0x7c00
	v_cndmask_b32_e32 v16, 0x7c00, v16, vcc_lo
	v_cmp_eq_u32_e32 vcc_lo, 0x40f, v22
	v_lshlrev_b32_e32 v15, v15, v24
	v_cvt_f64_f32_e32 v[11:12], v19
	v_bfe_u32 v22, v14, 20, 11
	v_cndmask_b32_e32 v19, v16, v23, vcc_lo
	v_cmp_ne_u32_e32 vcc_lo, 0, v13
	v_lshrrev_b32_e32 v16, 8, v14
	v_lshrrev_b32_e32 v14, 16, v14
	v_and_or_b32 v17, 0x8000, v17, v19
	v_cndmask_b32_e64 v13, 0, 1, vcc_lo
	v_cmp_ne_u32_e32 vcc_lo, v15, v18
	v_add_nc_u32_e32 v18, 0xfffffc10, v21
	v_and_or_b32 v13, 0xffe, v16, v13
	v_cndmask_b32_e64 v15, 0, 1, vcc_lo
	v_sub_nc_u32_e32 v16, 0x3f1, v22
	v_lshl_or_b32 v23, v18, 12, v3
	v_or_b32_e32 v21, v24, v15
	v_add_co_u32 v15, vcc_lo, v0, s5
	v_med3_i32 v26, v16, 0, 13
	v_add_co_ci_u32_e32 v16, vcc_lo, s4, v1, vcc_lo
	v_cmp_gt_i32_e32 vcc_lo, 1, v18
	v_or_b32_e32 v24, 0x1000, v13
	v_fma_f16 v0, v118, v20, -v8
	v_mul_f64 v[11:12], v[11:12], s[2:3]
	global_store_dword v[15:16], v9, off
	v_cndmask_b32_e32 v19, v23, v21, vcc_lo
	v_lshrrev_b32_e32 v23, v26, v24
	v_and_b32_e32 v21, 0xffff, v25
	v_cvt_f32_f16_e32 v0, v0
	v_and_b32_e32 v1, 7, v19
	v_lshlrev_b32_e32 v8, v26, v23
	v_lshrrev_b32_e32 v9, 2, v19
	v_lshl_or_b32 v6, v17, 16, v21
	v_add_nc_u32_e32 v17, 0xfffffc10, v22
	v_cmp_lt_i32_e32 vcc_lo, 5, v1
	v_cmp_eq_u32_e64 s0, 3, v1
	v_cmp_ne_u32_e64 s1, v8, v24
	v_cvt_f64_f32_e32 v[0:1], v0
	v_lshl_or_b32 v21, v17, 12, v13
	s_or_b32 vcc_lo, s0, vcc_lo
	v_cndmask_b32_e64 v8, 0, 1, s1
	v_add_co_ci_u32_e32 v19, vcc_lo, 0, v9, vcc_lo
	v_cmp_ne_u32_e32 vcc_lo, 0, v3
	v_and_or_b32 v11, 0x1ff, v12, v11
	v_or_b32_e32 v20, v23, v8
	v_cmp_eq_u32_e64 s1, 0x40f, v18
	v_cndmask_b32_e64 v3, 0, 1, vcc_lo
	v_add_co_u32 v8, vcc_lo, v15, s5
	v_add_co_ci_u32_e32 v9, vcc_lo, s4, v16, vcc_lo
	v_cmp_gt_i32_e32 vcc_lo, 1, v17
	v_lshl_or_b32 v3, v3, 9, 0x7c00
	global_store_dword v[8:9], v6, off
	v_cndmask_b32_e32 v15, v21, v20, vcc_lo
	v_cmp_gt_i32_e32 vcc_lo, 31, v18
	v_bfe_u32 v20, v12, 20, 11
	v_mul_f64 v[0:1], v[0:1], s[2:3]
	v_and_b32_e32 v21, 7, v15
	v_cndmask_b32_e32 v16, 0x7c00, v19, vcc_lo
	v_cmp_ne_u32_e32 vcc_lo, 0, v11
	v_lshrrev_b32_e32 v19, 8, v12
	v_sub_nc_u32_e32 v22, 0x3f1, v20
	v_cmp_eq_u32_e64 s0, 3, v21
	v_lshrrev_b32_e32 v15, 2, v15
	v_cndmask_b32_e64 v11, 0, 1, vcc_lo
	v_cmp_lt_i32_e32 vcc_lo, 5, v21
	v_med3_i32 v22, v22, 0, 13
	v_cndmask_b32_e64 v3, v16, v3, s1
	v_add_nc_u32_e32 v20, 0xfffffc10, v20
	v_and_or_b32 v11, 0xffe, v19, v11
	v_lshrrev_b32_e32 v19, 16, v2
	s_or_b32 vcc_lo, s0, vcc_lo
	v_add_co_ci_u32_e32 v15, vcc_lo, 0, v15, vcc_lo
	v_or_b32_e32 v21, 0x1000, v11
	v_mul_f16_sdwa v23, v117, v19 dst_sel:DWORD dst_unused:UNUSED_PAD src0_sel:WORD_1 src1_sel:DWORD
	v_cmp_ne_u32_e32 vcc_lo, 0, v13
	v_and_or_b32 v0, 0x1ff, v1, v0
	v_bfe_u32 v24, v1, 20, 11
	v_lshrrev_b32_e32 v18, v22, v21
	v_fmac_f16_e32 v23, v117, v2
	v_cndmask_b32_e64 v13, 0, 1, vcc_lo
	v_cmp_gt_i32_e32 vcc_lo, 31, v17
	v_mul_f16_sdwa v2, v117, v2 dst_sel:DWORD dst_unused:UNUSED_PAD src0_sel:WORD_1 src1_sel:DWORD
	v_lshlrev_b32_e32 v22, v22, v18
	v_cvt_f32_f16_e32 v16, v23
	v_lshl_or_b32 v13, v13, 9, 0x7c00
	v_cndmask_b32_e32 v23, 0x7c00, v15, vcc_lo
	v_fma_f16 v2, v117, v19, -v2
	v_cmp_ne_u32_e32 vcc_lo, v22, v21
	v_cvt_f64_f32_e32 v[15:16], v16
	v_lshrrev_b32_e32 v22, 8, v1
	v_lshrrev_b32_e32 v1, 16, v1
	v_cvt_f32_f16_e32 v2, v2
	v_cndmask_b32_e64 v21, 0, 1, vcc_lo
	v_cmp_ne_u32_e32 vcc_lo, 0, v0
	v_or_b32_e32 v18, v18, v21
	v_cndmask_b32_e64 v0, 0, 1, vcc_lo
	v_cmp_eq_u32_e32 vcc_lo, 0x40f, v17
	v_lshl_or_b32 v21, v20, 12, v11
	v_and_or_b32 v0, 0xffe, v22, v0
	v_sub_nc_u32_e32 v22, 0x3f1, v24
	v_cndmask_b32_e32 v13, v23, v13, vcc_lo
	v_cmp_gt_i32_e32 vcc_lo, 1, v20
	v_and_or_b32 v13, 0x8000, v14, v13
	v_cndmask_b32_e32 v17, v21, v18, vcc_lo
	v_or_b32_e32 v18, 0x1000, v0
	v_med3_i32 v21, v22, 0, 13
	v_and_or_b32 v22, 0x8000, v4, v3
	v_mul_f64 v[3:4], v[15:16], s[2:3]
	v_and_b32_e32 v14, 7, v17
	v_lshrrev_b32_e32 v17, 2, v17
	v_lshrrev_b32_e32 v15, v21, v18
	v_and_b32_e32 v16, 0xffff, v22
	v_cmp_lt_i32_e32 vcc_lo, 5, v14
	v_cmp_eq_u32_e64 s0, 3, v14
	v_lshlrev_b32_e32 v6, v21, v15
	v_lshl_or_b32 v16, v13, 16, v16
	v_cvt_f64_f32_e32 v[13:14], v2
	v_lshrrev_b32_e32 v21, 16, v7
	s_or_b32 vcc_lo, s0, vcc_lo
	v_cmp_ne_u32_e64 s1, v6, v18
	v_add_co_ci_u32_e32 v2, vcc_lo, 0, v17, vcc_lo
	v_add_nc_u32_e32 v18, 0xfffffc10, v24
	v_cmp_ne_u32_e32 vcc_lo, 0, v11
	v_cndmask_b32_e64 v6, 0, 1, s1
	v_mul_f16_sdwa v24, v116, v21 dst_sel:DWORD dst_unused:UNUSED_PAD src0_sel:WORD_1 src1_sel:DWORD
	v_and_or_b32 v3, 0x1ff, v4, v3
	v_or_b32_e32 v6, v15, v6
	v_lshl_or_b32 v15, v18, 12, v0
	v_cndmask_b32_e64 v11, 0, 1, vcc_lo
	v_cmp_gt_i32_e32 vcc_lo, 1, v18
	v_bfe_u32 v17, v4, 20, 11
	v_fmac_f16_e32 v24, v116, v7
	v_lshl_or_b32 v11, v11, 9, 0x7c00
	v_cndmask_b32_e32 v6, v15, v6, vcc_lo
	v_cmp_ne_u32_e32 vcc_lo, 0, v3
	v_lshrrev_b32_e32 v15, 8, v4
	v_sub_nc_u32_e32 v23, 0x3f1, v17
	v_add_nc_u32_e32 v17, 0xfffffc10, v17
	v_and_b32_e32 v19, 7, v6
	v_cndmask_b32_e64 v3, 0, 1, vcc_lo
	v_cmp_gt_i32_e32 vcc_lo, 31, v20
	v_lshrrev_b32_e32 v6, 2, v6
	v_lshrrev_b32_e32 v4, 16, v4
	v_cmp_eq_u32_e64 s0, 3, v19
	v_and_or_b32 v15, 0xffe, v15, v3
	v_cndmask_b32_e32 v22, 0x7c00, v2, vcc_lo
	v_cmp_lt_i32_e32 vcc_lo, 5, v19
	v_mul_f64 v[2:3], v[13:14], s[2:3]
	v_med3_i32 v13, v23, 0, 13
	v_or_b32_e32 v25, 0x1000, v15
	v_cvt_f32_f16_e32 v14, v24
	s_or_b32 vcc_lo, s0, vcc_lo
	v_add_co_ci_u32_e32 v6, vcc_lo, 0, v6, vcc_lo
	v_add_co_u32 v8, vcc_lo, v8, s5
	v_add_co_ci_u32_e32 v9, vcc_lo, s4, v9, vcc_lo
	v_lshrrev_b32_e32 v19, v13, v25
	v_cmp_ne_u32_e32 vcc_lo, 0, v0
	global_store_dword v[8:9], v16, off
	v_lshlrev_b32_e32 v23, v13, v19
	v_cvt_f64_f32_e32 v[13:14], v14
	v_cndmask_b32_e64 v0, 0, 1, vcc_lo
	v_cmp_eq_u32_e32 vcc_lo, 0x40f, v20
	v_and_or_b32 v2, 0x1ff, v3, v2
	v_lshl_or_b32 v0, v0, 9, 0x7c00
	v_cndmask_b32_e32 v20, v22, v11, vcc_lo
	v_cmp_gt_i32_e32 vcc_lo, 31, v18
	v_lshrrev_b32_e32 v22, 16, v12
	v_cndmask_b32_e32 v6, 0x7c00, v6, vcc_lo
	v_cmp_ne_u32_e32 vcc_lo, v23, v25
	v_cndmask_b32_e64 v11, 0, 1, vcc_lo
	v_cmp_eq_u32_e32 vcc_lo, 0x40f, v18
	v_lshrrev_b32_e32 v18, 8, v3
	v_cndmask_b32_e32 v0, v6, v0, vcc_lo
	v_cmp_ne_u32_e32 vcc_lo, 0, v2
	v_or_b32_e32 v6, v19, v11
	v_mul_f64 v[11:12], v[13:14], s[2:3]
	v_bfe_u32 v19, v3, 20, 11
	v_lshl_or_b32 v13, v17, 12, v15
	v_cndmask_b32_e64 v2, 0, 1, vcc_lo
	v_cmp_gt_i32_e32 vcc_lo, 1, v17
	v_and_or_b32 v14, 0x8000, v22, v20
	v_and_or_b32 v0, 0x8000, v1, v0
	v_lshrrev_b32_e32 v3, 16, v3
	v_and_or_b32 v18, 0xffe, v18, v2
	v_sub_nc_u32_e32 v2, 0x3f1, v19
	v_cndmask_b32_e32 v6, v13, v6, vcc_lo
	v_or_b32_e32 v13, 0x1000, v18
	v_med3_i32 v1, v2, 0, 13
	v_mul_f16_sdwa v2, v116, v7 dst_sel:DWORD dst_unused:UNUSED_PAD src0_sel:WORD_1 src1_sel:DWORD
	v_and_b32_e32 v7, 0xffff, v14
	v_and_b32_e32 v14, 7, v6
	v_lshrrev_b32_e32 v16, v1, v13
	v_fma_f16 v20, v116, v21, -v2
	v_lshl_or_b32 v2, v0, 16, v7
	v_and_or_b32 v11, 0x1ff, v12, v11
	v_add_co_u32 v0, s1, v8, s5
	v_cvt_f32_f16_e32 v7, v20
	v_cmp_lt_i32_e32 vcc_lo, 5, v14
	v_cmp_eq_u32_e64 s0, 3, v14
	v_lshlrev_b32_e32 v14, v1, v16
	v_add_co_ci_u32_e64 v1, s1, s4, v9, s1
	v_cmp_ne_u32_e64 s1, 0, v11
	v_lshrrev_b32_e32 v8, 2, v6
	v_cvt_f64_f32_e32 v[6:7], v7
	v_lshrrev_b32_e32 v11, 8, v12
	v_bfe_u32 v20, v12, 20, 11
	v_cndmask_b32_e64 v9, 0, 1, s1
	v_cmp_ne_u32_e64 s1, v14, v13
	v_add_nc_u32_e32 v14, 0xfffffc10, v19
	s_or_b32 vcc_lo, s0, vcc_lo
	v_lshrrev_b32_e32 v21, 16, v5
	v_add_co_ci_u32_e32 v8, vcc_lo, 0, v8, vcc_lo
	v_cndmask_b32_e64 v13, 0, 1, s1
	v_and_or_b32 v11, 0xffe, v11, v9
	v_sub_nc_u32_e32 v9, 0x3f1, v20
	v_cmp_gt_i32_e32 vcc_lo, 1, v14
	v_mul_f16_sdwa v22, v115, v21 dst_sel:DWORD dst_unused:UNUSED_PAD src0_sel:WORD_1 src1_sel:DWORD
	v_or_b32_e32 v13, v16, v13
	v_lshl_or_b32 v16, v14, 12, v18
	v_or_b32_e32 v19, 0x1000, v11
	v_med3_i32 v9, v9, 0, 13
	v_cmp_eq_u32_e64 s1, 0x40f, v17
	v_fmac_f16_e32 v22, v115, v5
	v_cndmask_b32_e32 v13, v16, v13, vcc_lo
	v_cmp_ne_u32_e32 vcc_lo, 0, v15
	v_mul_f64 v[6:7], v[6:7], s[2:3]
	v_lshrrev_b32_e32 v16, v9, v19
	v_mul_f16_sdwa v5, v115, v5 dst_sel:DWORD dst_unused:UNUSED_PAD src0_sel:WORD_1 src1_sel:DWORD
	v_and_b32_e32 v23, 7, v13
	v_cndmask_b32_e64 v15, 0, 1, vcc_lo
	v_cmp_gt_i32_e32 vcc_lo, 31, v17
	v_lshlrev_b32_e32 v9, v9, v16
	v_lshrrev_b32_e32 v13, 2, v13
	v_cmp_eq_u32_e64 s0, 3, v23
	v_lshl_or_b32 v15, v15, 9, 0x7c00
	v_cndmask_b32_e32 v8, 0x7c00, v8, vcc_lo
	v_cmp_lt_i32_e32 vcc_lo, 5, v23
	v_fma_f16 v5, v115, v21, -v5
	v_cndmask_b32_e64 v15, v8, v15, s1
	v_cmp_ne_u32_e64 s1, v9, v19
	v_cvt_f32_f16_e32 v8, v22
	s_or_b32 vcc_lo, s0, vcc_lo
	v_add_nc_u32_e32 v19, 0xfffffc10, v20
	v_add_co_ci_u32_e32 v13, vcc_lo, 0, v13, vcc_lo
	v_cndmask_b32_e64 v17, 0, 1, s1
	v_cmp_ne_u32_e32 vcc_lo, 0, v18
	v_cvt_f64_f32_e32 v[8:9], v8
	v_and_or_b32 v6, 0x1ff, v7, v6
	v_bfe_u32 v20, v7, 20, 11
	v_or_b32_e32 v16, v16, v17
	v_lshl_or_b32 v17, v19, 12, v11
	v_cndmask_b32_e64 v18, 0, 1, vcc_lo
	v_cmp_gt_i32_e32 vcc_lo, 1, v19
	v_and_or_b32 v4, 0x8000, v4, v15
	v_lshl_or_b32 v18, v18, 9, 0x7c00
	v_cndmask_b32_e32 v16, v17, v16, vcc_lo
	v_cmp_ne_u32_e32 vcc_lo, 0, v6
	v_lshrrev_b32_e32 v17, 8, v7
	v_and_b32_e32 v4, 0xffff, v4
	v_and_b32_e32 v22, 7, v16
	v_cndmask_b32_e64 v6, 0, 1, vcc_lo
	v_cmp_gt_i32_e32 vcc_lo, 31, v14
	v_cmp_eq_u32_e64 s0, 3, v22
	v_and_or_b32 v17, 0xffe, v17, v6
	v_cndmask_b32_e32 v13, 0x7c00, v13, vcc_lo
	v_cmp_eq_u32_e32 vcc_lo, 0x40f, v14
	v_sub_nc_u32_e32 v6, 0x3f1, v20
	v_mul_f64 v[8:9], v[8:9], s[2:3]
	v_or_b32_e32 v14, 0x1000, v17
	v_cndmask_b32_e32 v13, v13, v18, vcc_lo
	v_med3_i32 v6, v6, 0, 13
	v_cmp_lt_i32_e32 vcc_lo, 5, v22
	v_and_or_b32 v3, 0x8000, v3, v13
	v_lshrrev_b32_e32 v13, 2, v16
	v_lshrrev_b32_e32 v15, v6, v14
	s_or_b32 vcc_lo, s0, vcc_lo
	v_lshl_or_b32 v16, v3, 16, v4
	v_add_co_ci_u32_e32 v13, vcc_lo, 0, v13, vcc_lo
	v_lshlrev_b32_e32 v6, v6, v15
	v_cmp_ne_u32_e32 vcc_lo, 0, v11
	v_cvt_f32_f16_e32 v3, v5
	v_cndmask_b32_e64 v11, 0, 1, vcc_lo
	v_cmp_ne_u32_e32 vcc_lo, v6, v14
	v_and_or_b32 v8, 0x1ff, v9, v8
	v_add_nc_u32_e32 v14, 0xfffffc10, v20
	v_lshrrev_b32_e32 v18, 8, v9
	v_bfe_u32 v20, v9, 20, 11
	v_cndmask_b32_e64 v5, 0, 1, vcc_lo
	v_cmp_gt_i32_e32 vcc_lo, 31, v19
	v_cvt_f64_f32_e32 v[3:4], v3
	v_lshrrev_b32_e32 v9, 16, v9
	v_or_b32_e32 v5, v15, v5
	v_cndmask_b32_e32 v6, 0x7c00, v13, vcc_lo
	v_cmp_ne_u32_e32 vcc_lo, 0, v8
	v_lshrrev_b32_e32 v13, 16, v10
	v_lshl_or_b32 v15, v14, 12, v17
	v_cndmask_b32_e64 v8, 0, 1, vcc_lo
	v_cmp_gt_i32_e32 vcc_lo, 1, v14
	v_mul_f16_sdwa v21, v114, v13 dst_sel:DWORD dst_unused:UNUSED_PAD src0_sel:WORD_1 src1_sel:DWORD
	v_and_or_b32 v18, 0xffe, v18, v8
	v_sub_nc_u32_e32 v8, 0x3f1, v20
	v_cndmask_b32_e32 v15, v15, v5, vcc_lo
	v_fmac_f16_e32 v21, v114, v10
	v_lshl_or_b32 v5, v11, 9, 0x7c00
	v_or_b32_e32 v11, 0x1000, v18
	v_med3_i32 v8, v8, 0, 13
	v_and_b32_e32 v22, 7, v15
	v_cmp_eq_u32_e32 vcc_lo, 0x40f, v19
	v_cvt_f32_f16_e32 v21, v21
	v_mul_f64 v[3:4], v[3:4], s[2:3]
	v_lshrrev_b32_e32 v23, v8, v11
	v_cmp_eq_u32_e64 s0, 3, v22
	v_cndmask_b32_e32 v19, v6, v5, vcc_lo
	v_cmp_lt_i32_e32 vcc_lo, 5, v22
	v_cvt_f64_f32_e32 v[5:6], v21
	v_lshrrev_b32_e32 v21, 16, v12
	v_lshrrev_b32_e32 v12, 2, v15
	v_lshlrev_b32_e32 v8, v8, v23
	s_or_b32 vcc_lo, s0, vcc_lo
	v_mul_f16_sdwa v10, v114, v10 dst_sel:DWORD dst_unused:UNUSED_PAD src0_sel:WORD_1 src1_sel:DWORD
	v_add_nc_u32_e32 v15, 0xfffffc10, v20
	v_add_co_ci_u32_e32 v12, vcc_lo, 0, v12, vcc_lo
	v_cmp_ne_u32_e32 vcc_lo, v8, v11
	v_fma_f16 v10, v114, v13, -v10
	v_and_or_b32 v19, 0x8000, v21, v19
	v_cndmask_b32_e64 v8, 0, 1, vcc_lo
	v_cmp_ne_u32_e32 vcc_lo, 0, v17
	v_cvt_f32_f16_e32 v10, v10
	v_lshl_or_b32 v17, v15, 12, v18
	v_and_or_b32 v3, 0x1ff, v4, v3
	v_or_b32_e32 v8, v23, v8
	v_cndmask_b32_e64 v13, 0, 1, vcc_lo
	v_cmp_gt_i32_e32 vcc_lo, 31, v14
	v_cvt_f64_f32_e32 v[10:11], v10
	v_mul_f64 v[5:6], v[5:6], s[2:3]
	v_and_b32_e32 v19, 0xffff, v19
	v_lshl_or_b32 v22, v13, 9, 0x7c00
	v_cndmask_b32_e32 v20, 0x7c00, v12, vcc_lo
	v_add_co_u32 v12, vcc_lo, v0, s5
	v_add_co_ci_u32_e32 v13, vcc_lo, s4, v1, vcc_lo
	v_cmp_gt_i32_e32 vcc_lo, 1, v15
	v_cndmask_b32_e32 v17, v17, v8, vcc_lo
	v_cmp_eq_u32_e32 vcc_lo, 0x40f, v14
	v_lshrrev_b32_e32 v8, 8, v4
	v_and_b32_e32 v23, 7, v17
	v_cndmask_b32_e32 v14, v20, v22, vcc_lo
	v_cmp_ne_u32_e32 vcc_lo, 0, v3
	v_bfe_u32 v20, v4, 20, 11
	v_lshrrev_b32_e32 v22, 16, v7
	v_cmp_eq_u32_e64 s0, 3, v23
	v_lshrrev_b32_e32 v17, 2, v17
	v_cndmask_b32_e64 v3, 0, 1, vcc_lo
	v_sub_nc_u32_e32 v21, 0x3f1, v20
	v_cmp_lt_i32_e32 vcc_lo, 5, v23
	v_and_or_b32 v5, 0x1ff, v6, v5
	v_bfe_u32 v23, v6, 20, 11
	v_and_or_b32 v3, 0xffe, v8, v3
	v_mul_f64 v[7:8], v[10:11], s[2:3]
	v_and_or_b32 v10, 0x8000, v22, v14
	v_med3_i32 v14, v21, 0, 13
	s_or_b32 vcc_lo, s0, vcc_lo
	v_or_b32_e32 v11, 0x1000, v3
	v_add_co_ci_u32_e32 v17, vcc_lo, 0, v17, vcc_lo
	v_cmp_ne_u32_e32 vcc_lo, 0, v5
	v_lshrrev_b32_e32 v22, 8, v6
	v_lshrrev_b32_e32 v21, v14, v11
	;; [unrolled: 1-line block ×4, first 2 shown]
	v_cndmask_b32_e64 v5, 0, 1, vcc_lo
	v_cmp_ne_u32_e32 vcc_lo, 0, v18
	v_lshlrev_b32_e32 v14, v14, v21
	v_lshl_or_b32 v10, v10, 16, v19
	v_and_or_b32 v5, 0xffe, v22, v5
	v_cndmask_b32_e64 v18, 0, 1, vcc_lo
	v_cmp_ne_u32_e32 vcc_lo, v14, v11
	v_sub_nc_u32_e32 v22, 0x3f1, v23
	v_add_nc_u32_e32 v14, 0xfffffc10, v20
	v_and_or_b32 v7, 0x1ff, v8, v7
	v_or_b32_e32 v20, 0x1000, v5
	v_cndmask_b32_e64 v11, 0, 1, vcc_lo
	v_cmp_gt_i32_e32 vcc_lo, 31, v15
	v_med3_i32 v22, v22, 0, 13
	v_lshrrev_b32_e32 v24, 8, v8
	v_bfe_u32 v25, v8, 20, 11
	v_or_b32_e32 v11, v21, v11
	v_cndmask_b32_e32 v17, 0x7c00, v17, vcc_lo
	v_cmp_ne_u32_e32 vcc_lo, 0, v7
	v_lshl_or_b32 v21, v14, 12, v3
	v_lshrrev_b32_e32 v26, v22, v20
	v_lshl_or_b32 v18, v18, 9, 0x7c00
	v_cndmask_b32_e64 v7, 0, 1, vcc_lo
	v_cmp_gt_i32_e32 vcc_lo, 1, v14
	v_and_or_b32 v7, 0xffe, v24, v7
	v_sub_nc_u32_e32 v24, 0x3f1, v25
	v_cndmask_b32_e32 v11, v21, v11, vcc_lo
	v_lshlrev_b32_e32 v21, v22, v26
	v_cmp_eq_u32_e32 vcc_lo, 0x40f, v15
	v_or_b32_e32 v22, 0x1000, v7
	v_med3_i32 v24, v24, 0, 13
	v_and_b32_e32 v27, 7, v11
	v_lshrrev_b32_e32 v11, 2, v11
	v_cndmask_b32_e32 v15, v17, v18, vcc_lo
	v_cmp_ne_u32_e32 vcc_lo, v21, v20
	v_add_nc_u32_e32 v18, 0xfffffc10, v23
	v_lshrrev_b32_e32 v20, v24, v22
	v_cmp_eq_u32_e64 s0, 3, v27
	v_and_or_b32 v9, 0x8000, v9, v15
	v_cndmask_b32_e64 v17, 0, 1, vcc_lo
	v_lshl_or_b32 v21, v18, 12, v5
	v_lshlrev_b32_e32 v23, v24, v20
	v_cmp_gt_i32_e64 s1, 1, v18
	v_cmp_lt_i32_e32 vcc_lo, 5, v27
	v_or_b32_e32 v17, v26, v17
	v_and_b32_e32 v9, 0xffff, v9
	s_or_b32 vcc_lo, s0, vcc_lo
	v_cndmask_b32_e64 v17, v21, v17, s1
	v_cmp_ne_u32_e64 s1, v23, v22
	v_add_nc_u32_e32 v22, 0xfffffc10, v25
	v_add_co_ci_u32_e32 v11, vcc_lo, 0, v11, vcc_lo
	v_and_b32_e32 v23, 7, v17
	v_cndmask_b32_e64 v21, 0, 1, s1
	v_cmp_ne_u32_e32 vcc_lo, 0, v3
	v_cmp_gt_i32_e64 s0, 1, v22
	v_lshrrev_b32_e32 v17, 2, v17
	v_cmp_gt_i32_e64 s1, 31, v14
	v_or_b32_e32 v20, v20, v21
	v_lshl_or_b32 v21, v22, 12, v7
	v_cndmask_b32_e64 v3, 0, 1, vcc_lo
	v_cmp_lt_i32_e32 vcc_lo, 5, v23
	v_cndmask_b32_e64 v11, 0x7c00, v11, s1
	v_cmp_eq_u32_e64 s1, 0x40f, v14
	v_cndmask_b32_e64 v15, v21, v20, s0
	v_cmp_eq_u32_e64 s0, 3, v23
	v_lshl_or_b32 v3, v3, 9, 0x7c00
	v_and_b32_e32 v20, 7, v15
	s_or_b32 vcc_lo, s0, vcc_lo
	v_cndmask_b32_e64 v3, v11, v3, s1
	v_add_co_ci_u32_e32 v17, vcc_lo, 0, v17, vcc_lo
	v_cmp_ne_u32_e32 vcc_lo, 0, v5
	v_cmp_eq_u32_e64 s0, 3, v20
	v_lshrrev_b32_e32 v11, 2, v15
	v_cmp_gt_i32_e64 s1, 31, v18
	v_cndmask_b32_e64 v5, 0, 1, vcc_lo
	v_cmp_lt_i32_e32 vcc_lo, 5, v20
	v_cndmask_b32_e64 v14, 0x7c00, v17, s1
	v_lshl_or_b32 v5, v5, 9, 0x7c00
	s_or_b32 vcc_lo, s0, vcc_lo
	v_add_co_ci_u32_e32 v11, vcc_lo, 0, v11, vcc_lo
	v_cmp_ne_u32_e32 vcc_lo, 0, v7
	v_cndmask_b32_e64 v7, 0, 1, vcc_lo
	v_cmp_eq_u32_e32 vcc_lo, 0x40f, v18
	v_lshl_or_b32 v7, v7, 9, 0x7c00
	v_cndmask_b32_e32 v5, v14, v5, vcc_lo
	v_cmp_gt_i32_e32 vcc_lo, 31, v22
	v_and_or_b32 v14, 0x8000, v4, v3
	v_and_or_b32 v5, 0x8000, v6, v5
	v_cndmask_b32_e32 v11, 0x7c00, v11, vcc_lo
	v_cmp_eq_u32_e32 vcc_lo, 0x40f, v22
	v_lshl_or_b32 v9, v14, 16, v9
	v_cndmask_b32_e32 v6, v11, v7, vcc_lo
	v_lshrrev_b32_e32 v7, 16, v8
	v_add_co_u32 v3, vcc_lo, v12, s5
	v_add_co_ci_u32_e32 v4, vcc_lo, s4, v13, vcc_lo
	v_and_or_b32 v7, 0x8000, v7, v6
	v_and_b32_e32 v8, 0xffff, v5
	v_add_co_u32 v5, vcc_lo, v3, s5
	v_add_co_ci_u32_e32 v6, vcc_lo, s4, v4, vcc_lo
	v_lshl_or_b32 v11, v7, 16, v8
	v_add_co_u32 v7, vcc_lo, v5, s5
	v_add_co_ci_u32_e32 v8, vcc_lo, s4, v6, vcc_lo
	global_store_dword v[0:1], v2, off
	global_store_dword v[12:13], v16, off
	;; [unrolled: 1-line block ×5, first 2 shown]
.LBB0_2:
	s_endpgm
	.section	.rodata,"a",@progbits
	.p2align	6, 0x0
	.amdhsa_kernel bluestein_single_back_len2430_dim1_half_op_CI_CI
		.amdhsa_group_segment_fixed_size 9720
		.amdhsa_private_segment_fixed_size 0
		.amdhsa_kernarg_size 104
		.amdhsa_user_sgpr_count 6
		.amdhsa_user_sgpr_private_segment_buffer 1
		.amdhsa_user_sgpr_dispatch_ptr 0
		.amdhsa_user_sgpr_queue_ptr 0
		.amdhsa_user_sgpr_kernarg_segment_ptr 1
		.amdhsa_user_sgpr_dispatch_id 0
		.amdhsa_user_sgpr_flat_scratch_init 0
		.amdhsa_user_sgpr_private_segment_size 0
		.amdhsa_wavefront_size32 1
		.amdhsa_uses_dynamic_stack 0
		.amdhsa_system_sgpr_private_segment_wavefront_offset 0
		.amdhsa_system_sgpr_workgroup_id_x 1
		.amdhsa_system_sgpr_workgroup_id_y 0
		.amdhsa_system_sgpr_workgroup_id_z 0
		.amdhsa_system_sgpr_workgroup_info 0
		.amdhsa_system_vgpr_workitem_id 0
		.amdhsa_next_free_vgpr 245
		.amdhsa_next_free_sgpr 20
		.amdhsa_reserve_vcc 1
		.amdhsa_reserve_flat_scratch 0
		.amdhsa_float_round_mode_32 0
		.amdhsa_float_round_mode_16_64 0
		.amdhsa_float_denorm_mode_32 3
		.amdhsa_float_denorm_mode_16_64 3
		.amdhsa_dx10_clamp 1
		.amdhsa_ieee_mode 1
		.amdhsa_fp16_overflow 0
		.amdhsa_workgroup_processor_mode 1
		.amdhsa_memory_ordered 1
		.amdhsa_forward_progress 0
		.amdhsa_shared_vgpr_count 0
		.amdhsa_exception_fp_ieee_invalid_op 0
		.amdhsa_exception_fp_denorm_src 0
		.amdhsa_exception_fp_ieee_div_zero 0
		.amdhsa_exception_fp_ieee_overflow 0
		.amdhsa_exception_fp_ieee_underflow 0
		.amdhsa_exception_fp_ieee_inexact 0
		.amdhsa_exception_int_div_zero 0
	.end_amdhsa_kernel
	.text
.Lfunc_end0:
	.size	bluestein_single_back_len2430_dim1_half_op_CI_CI, .Lfunc_end0-bluestein_single_back_len2430_dim1_half_op_CI_CI
                                        ; -- End function
	.section	.AMDGPU.csdata,"",@progbits
; Kernel info:
; codeLenInByte = 51408
; NumSgprs: 22
; NumVgprs: 245
; ScratchSize: 0
; MemoryBound: 0
; FloatMode: 240
; IeeeMode: 1
; LDSByteSize: 9720 bytes/workgroup (compile time only)
; SGPRBlocks: 2
; VGPRBlocks: 30
; NumSGPRsForWavesPerEU: 22
; NumVGPRsForWavesPerEU: 245
; Occupancy: 4
; WaveLimiterHint : 1
; COMPUTE_PGM_RSRC2:SCRATCH_EN: 0
; COMPUTE_PGM_RSRC2:USER_SGPR: 6
; COMPUTE_PGM_RSRC2:TRAP_HANDLER: 0
; COMPUTE_PGM_RSRC2:TGID_X_EN: 1
; COMPUTE_PGM_RSRC2:TGID_Y_EN: 0
; COMPUTE_PGM_RSRC2:TGID_Z_EN: 0
; COMPUTE_PGM_RSRC2:TIDIG_COMP_CNT: 0
	.text
	.p2alignl 6, 3214868480
	.fill 48, 4, 3214868480
	.type	__hip_cuid_bff7b989ab55a359,@object ; @__hip_cuid_bff7b989ab55a359
	.section	.bss,"aw",@nobits
	.globl	__hip_cuid_bff7b989ab55a359
__hip_cuid_bff7b989ab55a359:
	.byte	0                               ; 0x0
	.size	__hip_cuid_bff7b989ab55a359, 1

	.ident	"AMD clang version 19.0.0git (https://github.com/RadeonOpenCompute/llvm-project roc-6.4.0 25133 c7fe45cf4b819c5991fe208aaa96edf142730f1d)"
	.section	".note.GNU-stack","",@progbits
	.addrsig
	.addrsig_sym __hip_cuid_bff7b989ab55a359
	.amdgpu_metadata
---
amdhsa.kernels:
  - .args:
      - .actual_access:  read_only
        .address_space:  global
        .offset:         0
        .size:           8
        .value_kind:     global_buffer
      - .actual_access:  read_only
        .address_space:  global
        .offset:         8
        .size:           8
        .value_kind:     global_buffer
      - .actual_access:  read_only
        .address_space:  global
        .offset:         16
        .size:           8
        .value_kind:     global_buffer
      - .actual_access:  read_only
        .address_space:  global
        .offset:         24
        .size:           8
        .value_kind:     global_buffer
      - .actual_access:  read_only
        .address_space:  global
        .offset:         32
        .size:           8
        .value_kind:     global_buffer
      - .offset:         40
        .size:           8
        .value_kind:     by_value
      - .address_space:  global
        .offset:         48
        .size:           8
        .value_kind:     global_buffer
      - .address_space:  global
        .offset:         56
        .size:           8
        .value_kind:     global_buffer
      - .address_space:  global
        .offset:         64
        .size:           8
        .value_kind:     global_buffer
      - .address_space:  global
        .offset:         72
        .size:           8
        .value_kind:     global_buffer
      - .offset:         80
        .size:           4
        .value_kind:     by_value
      - .address_space:  global
        .offset:         88
        .size:           8
        .value_kind:     global_buffer
      - .address_space:  global
        .offset:         96
        .size:           8
        .value_kind:     global_buffer
    .group_segment_fixed_size: 9720
    .kernarg_segment_align: 8
    .kernarg_segment_size: 104
    .language:       OpenCL C
    .language_version:
      - 2
      - 0
    .max_flat_workgroup_size: 81
    .name:           bluestein_single_back_len2430_dim1_half_op_CI_CI
    .private_segment_fixed_size: 0
    .sgpr_count:     22
    .sgpr_spill_count: 0
    .symbol:         bluestein_single_back_len2430_dim1_half_op_CI_CI.kd
    .uniform_work_group_size: 1
    .uses_dynamic_stack: false
    .vgpr_count:     245
    .vgpr_spill_count: 0
    .wavefront_size: 32
    .workgroup_processor_mode: 1
amdhsa.target:   amdgcn-amd-amdhsa--gfx1030
amdhsa.version:
  - 1
  - 2
...

	.end_amdgpu_metadata
